;; amdgpu-corpus repo=ROCm/vllm kind=compiled arch=gfx950 opt=O3
	.amdgcn_target "amdgcn-amd-amdhsa--gfx950"
	.amdhsa_code_object_version 6
	.section	.text._ZN4vllm18act_and_mul_kernelIfTnPFT_RKS1_EXadL_ZNS_11silu_kernelIfEES1_S3_EELb1EEEvPS1_PS2_i,"axG",@progbits,_ZN4vllm18act_and_mul_kernelIfTnPFT_RKS1_EXadL_ZNS_11silu_kernelIfEES1_S3_EELb1EEEvPS1_PS2_i,comdat
	.protected	_ZN4vllm18act_and_mul_kernelIfTnPFT_RKS1_EXadL_ZNS_11silu_kernelIfEES1_S3_EELb1EEEvPS1_PS2_i ; -- Begin function _ZN4vllm18act_and_mul_kernelIfTnPFT_RKS1_EXadL_ZNS_11silu_kernelIfEES1_S3_EELb1EEEvPS1_PS2_i
	.globl	_ZN4vllm18act_and_mul_kernelIfTnPFT_RKS1_EXadL_ZNS_11silu_kernelIfEES1_S3_EELb1EEEvPS1_PS2_i
	.p2align	8
	.type	_ZN4vllm18act_and_mul_kernelIfTnPFT_RKS1_EXadL_ZNS_11silu_kernelIfEES1_S3_EELb1EEEvPS1_PS2_i,@function
_ZN4vllm18act_and_mul_kernelIfTnPFT_RKS1_EXadL_ZNS_11silu_kernelIfEES1_S3_EELb1EEEvPS1_PS2_i: ; @_ZN4vllm18act_and_mul_kernelIfTnPFT_RKS1_EXadL_ZNS_11silu_kernelIfEES1_S3_EELb1EEEvPS1_PS2_i
; %bb.0:
	s_load_dword s8, s[0:1], 0x10
	s_waitcnt lgkmcnt(0)
	v_cmp_gt_i32_e32 vcc, s8, v0
	s_and_saveexec_b64 s[4:5], vcc
	s_cbranch_execz .LBB0_8
; %bb.1:
	v_mov_b32_e32 v1, 0
	s_load_dwordx4 s[4:7], s[0:1], 0x0
	s_load_dword s10, s[0:1], 0x24
	s_ashr_i32 s9, s8, 31
	v_add_u32_e32 v2, 1, v0
	v_mov_b32_e32 v3, v1
	v_mov_b32_e32 v4, s9
	v_cmp_lt_i64_e32 vcc, s[8:9], v[2:3]
	s_mul_hi_u32 s3, s2, s8
	s_mul_i32 s0, s2, s9
	v_cndmask_b32_e64 v3, v4, 0, vcc
	v_mov_b32_e32 v4, s8
	s_add_i32 s13, s3, s0
	s_mul_i32 s12, s2, s8
	v_cndmask_b32_e32 v2, v4, v2, vcc
	s_lshl_b64 s[14:15], s[12:13], 3
	s_waitcnt lgkmcnt(0)
	s_and_b32 s10, s10, 0xffff
	v_sub_co_u32_e32 v2, vcc, v2, v0
	s_cmp_eq_u32 s10, 1
	s_nop 0
	v_subbrev_co_u32_e32 v3, vcc, 0, v3, vcc
	v_cmp_lt_u64_e32 vcc, 1, v[2:3]
	s_cselect_b64 s[0:1], -1, 0
	s_and_b64 s[18:19], vcc, s[0:1]
	s_mov_b64 s[0:1], -1
	s_and_saveexec_b64 s[16:17], s[18:19]
	s_cbranch_execz .LBB0_5
; %bb.2:
	s_lshl_b64 s[0:1], s[12:13], 2
	s_add_u32 s0, s4, s0
	s_mov_b32 s3, 0
	v_lshlrev_b64 v[10:11], 2, v[0:1]
	s_addc_u32 s1, s5, s1
	v_lshl_add_u64 v[6:7], s[0:1], 0, v[10:11]
	s_lshl_b64 s[0:1], s[2:3], 3
	s_or_b32 s0, s0, 4
	s_mul_i32 s2, s0, s9
	s_mul_hi_u32 s3, s0, s8
	s_add_i32 s2, s3, s2
	s_mul_i32 s1, s1, s8
	s_add_i32 s2, s2, s1
	s_mul_i32 s0, s0, s8
	s_add_u32 s0, s6, s0
	s_addc_u32 s1, s7, s2
	v_lshl_add_u64 v[8:9], s[0:1], 0, v[10:11]
	s_add_u32 s0, s6, s14
	v_and_b32_e32 v4, -2, v2
	v_mov_b32_e32 v5, v3
	s_addc_u32 s1, s7, s15
	v_lshl_add_u64 v[10:11], s[0:1], 0, v[10:11]
	s_mov_b64 s[2:3], 0
	s_mov_b32 s11, 0xbfb8aa3b
	s_mov_b32 s18, 0x42ce8ed0
	s_mov_b32 s19, 0xc2b17218
	v_mov_b32_e32 v14, 0x7f800000
	v_mov_b64_e32 v[12:13], v[4:5]
.LBB0_3:                                ; =>This Inner Loop Header: Depth=1
	global_load_dwordx2 v[16:17], v[10:11], off
	global_load_dwordx2 v[18:19], v[8:9], off
	v_lshl_add_u64 v[12:13], v[12:13], 0, -2
	v_cmp_eq_u64_e32 vcc, 0, v[12:13]
	s_or_b64 s[2:3], vcc, s[2:3]
	v_lshl_add_u64 v[8:9], v[8:9], 0, 8
	v_lshl_add_u64 v[10:11], v[10:11], 0, 8
	s_waitcnt vmcnt(1)
	v_mul_f32_e32 v15, 0xbfb8aa3b, v17
	v_mul_f32_e32 v20, 0xbfb8aa3b, v16
	v_rndne_f32_e32 v21, v15
	v_fma_f32 v22, v17, s11, -v15
	v_rndne_f32_e32 v23, v20
	v_fma_f32 v24, v16, s11, -v20
	v_sub_f32_e32 v15, v15, v21
	v_fmac_f32_e32 v22, 0xb2a5705f, v17
	v_sub_f32_e32 v20, v20, v23
	v_fmac_f32_e32 v24, 0xb2a5705f, v16
	v_add_f32_e32 v15, v15, v22
	v_add_f32_e32 v20, v20, v24
	v_cvt_i32_f32_e32 v21, v21
	v_cvt_i32_f32_e32 v23, v23
	v_exp_f32_e32 v15, v15
	v_exp_f32_e32 v20, v20
	v_cmp_nlt_f32_e32 vcc, s18, v16
	v_cmp_nlt_f32_e64 s[0:1], s18, v17
	v_ldexp_f32 v15, v15, v21
	v_ldexp_f32 v20, v20, v23
	v_cndmask_b32_e64 v15, 0, v15, s[0:1]
	v_cndmask_b32_e32 v20, 0, v20, vcc
	v_cmp_ngt_f32_e32 vcc, s19, v16
	v_cmp_ngt_f32_e64 s[0:1], s19, v17
	s_nop 0
	v_cndmask_b32_e32 v20, v14, v20, vcc
	v_cndmask_b32_e64 v21, v14, v15, s[0:1]
	v_pk_add_f32 v[20:21], v[20:21], 1.0 op_sel_hi:[1,0]
	s_nop 0
	v_div_scale_f32 v15, s[0:1], v21, v21, v17
	v_div_scale_f32 v23, s[0:1], v20, v20, v16
	v_rcp_f32_e32 v25, v15
	v_rcp_f32_e32 v26, v23
	v_div_scale_f32 v22, vcc, v17, v21, v17
	v_fma_f32 v27, -v15, v25, 1.0
	v_fma_f32 v28, -v23, v26, 1.0
	v_fmac_f32_e32 v25, v27, v25
	v_div_scale_f32 v24, s[0:1], v16, v20, v16
	v_fmac_f32_e32 v26, v28, v26
	v_mul_f32_e32 v27, v22, v25
	v_mul_f32_e32 v28, v24, v26
	v_fma_f32 v29, -v15, v27, v22
	v_fma_f32 v30, -v23, v28, v24
	v_fmac_f32_e32 v27, v29, v25
	v_fmac_f32_e32 v28, v30, v26
	v_fma_f32 v15, -v15, v27, v22
	v_fma_f32 v22, -v23, v28, v24
	v_div_fmas_f32 v15, v15, v25, v27
	s_mov_b64 vcc, s[0:1]
	v_div_fixup_f32 v17, v15, v21, v17
	v_div_fmas_f32 v15, v22, v26, v28
	v_div_fixup_f32 v16, v15, v20, v16
	s_waitcnt vmcnt(0)
	v_pk_mul_f32 v[16:17], v[18:19], v[16:17]
	global_store_dwordx2 v[6:7], v[16:17], off
	v_lshl_add_u64 v[6:7], v[6:7], 0, 8
	s_andn2_b64 exec, exec, s[2:3]
	s_cbranch_execnz .LBB0_3
; %bb.4:
	s_or_b64 exec, exec, s[2:3]
	v_cmp_ne_u64_e32 vcc, v[2:3], v[4:5]
	v_lshl_add_u64 v[0:1], v[4:5], 0, v[0:1]
	s_orn2_b64 s[0:1], vcc, exec
.LBB0_5:
	s_or_b64 exec, exec, s[16:17]
	s_and_b64 exec, exec, s[0:1]
	s_cbranch_execz .LBB0_8
; %bb.6:
	s_add_u32 s0, s6, s14
	s_addc_u32 s1, s7, s15
	s_lshl_b64 s[2:3], s[8:9], 2
	s_add_u32 s2, s0, s2
	s_addc_u32 s3, s1, s3
	s_lshl_b64 s[6:7], s[12:13], 2
	s_add_u32 s4, s4, s6
	s_mov_b32 s11, 0
	s_addc_u32 s5, s5, s7
	v_lshlrev_b64 v[2:3], 2, v[0:1]
	s_lshl_b32 s6, s10, 2
	s_mov_b32 s7, s11
	s_mov_b64 s[12:13], 0
	s_mov_b32 s14, 0xbfb8aa3b
	s_mov_b32 s15, 0x42ce8ed0
	;; [unrolled: 1-line block ×3, first 2 shown]
	v_mov_b32_e32 v4, 0x7f800000
.LBB0_7:                                ; =>This Inner Loop Header: Depth=1
	v_lshl_add_u64 v[6:7], s[0:1], 0, v[2:3]
	global_load_dword v5, v[6:7], off
	v_lshl_add_u64 v[6:7], s[2:3], 0, v[2:3]
	global_load_dword v8, v[6:7], off
	v_lshl_add_u64 v[0:1], v[0:1], 0, s[10:11]
	v_cmp_le_i64_e32 vcc, s[8:9], v[0:1]
	s_or_b64 s[12:13], vcc, s[12:13]
	v_lshl_add_u64 v[6:7], s[4:5], 0, v[2:3]
	v_lshl_add_u64 v[2:3], v[2:3], 0, s[6:7]
	s_waitcnt vmcnt(1)
	v_mul_f32_e32 v9, 0xbfb8aa3b, v5
	v_fma_f32 v10, v5, s14, -v9
	v_rndne_f32_e32 v11, v9
	v_fmac_f32_e32 v10, 0xb2a5705f, v5
	v_sub_f32_e32 v9, v9, v11
	v_add_f32_e32 v9, v9, v10
	v_cvt_i32_f32_e32 v11, v11
	v_exp_f32_e32 v9, v9
	v_cmp_nlt_f32_e32 vcc, s15, v5
	v_ldexp_f32 v9, v9, v11
	s_nop 0
	v_cndmask_b32_e32 v9, 0, v9, vcc
	v_cmp_ngt_f32_e32 vcc, s16, v5
	s_nop 1
	v_cndmask_b32_e32 v9, v4, v9, vcc
	v_add_f32_e32 v9, 1.0, v9
	v_div_scale_f32 v10, s[18:19], v9, v9, v5
	v_rcp_f32_e32 v11, v10
	v_div_scale_f32 v12, vcc, v5, v9, v5
	v_fma_f32 v13, -v10, v11, 1.0
	v_fmac_f32_e32 v11, v13, v11
	v_mul_f32_e32 v13, v12, v11
	v_fma_f32 v14, -v10, v13, v12
	v_fmac_f32_e32 v13, v14, v11
	v_fma_f32 v10, -v10, v13, v12
	v_div_fmas_f32 v10, v10, v11, v13
	v_div_fixup_f32 v5, v10, v9, v5
	s_waitcnt vmcnt(0)
	v_mul_f32_e32 v5, v8, v5
	global_store_dword v[6:7], v5, off
	s_andn2_b64 exec, exec, s[12:13]
	s_cbranch_execnz .LBB0_7
.LBB0_8:
	s_endpgm
	.section	.rodata,"a",@progbits
	.p2align	6, 0x0
	.amdhsa_kernel _ZN4vllm18act_and_mul_kernelIfTnPFT_RKS1_EXadL_ZNS_11silu_kernelIfEES1_S3_EELb1EEEvPS1_PS2_i
		.amdhsa_group_segment_fixed_size 0
		.amdhsa_private_segment_fixed_size 0
		.amdhsa_kernarg_size 280
		.amdhsa_user_sgpr_count 2
		.amdhsa_user_sgpr_dispatch_ptr 0
		.amdhsa_user_sgpr_queue_ptr 0
		.amdhsa_user_sgpr_kernarg_segment_ptr 1
		.amdhsa_user_sgpr_dispatch_id 0
		.amdhsa_user_sgpr_kernarg_preload_length 0
		.amdhsa_user_sgpr_kernarg_preload_offset 0
		.amdhsa_user_sgpr_private_segment_size 0
		.amdhsa_uses_dynamic_stack 0
		.amdhsa_enable_private_segment 0
		.amdhsa_system_sgpr_workgroup_id_x 1
		.amdhsa_system_sgpr_workgroup_id_y 0
		.amdhsa_system_sgpr_workgroup_id_z 0
		.amdhsa_system_sgpr_workgroup_info 0
		.amdhsa_system_vgpr_workitem_id 0
		.amdhsa_next_free_vgpr 31
		.amdhsa_next_free_sgpr 20
		.amdhsa_accum_offset 32
		.amdhsa_reserve_vcc 1
		.amdhsa_float_round_mode_32 0
		.amdhsa_float_round_mode_16_64 0
		.amdhsa_float_denorm_mode_32 3
		.amdhsa_float_denorm_mode_16_64 3
		.amdhsa_dx10_clamp 1
		.amdhsa_ieee_mode 1
		.amdhsa_fp16_overflow 0
		.amdhsa_tg_split 0
		.amdhsa_exception_fp_ieee_invalid_op 0
		.amdhsa_exception_fp_denorm_src 0
		.amdhsa_exception_fp_ieee_div_zero 0
		.amdhsa_exception_fp_ieee_overflow 0
		.amdhsa_exception_fp_ieee_underflow 0
		.amdhsa_exception_fp_ieee_inexact 0
		.amdhsa_exception_int_div_zero 0
	.end_amdhsa_kernel
	.section	.text._ZN4vllm18act_and_mul_kernelIfTnPFT_RKS1_EXadL_ZNS_11silu_kernelIfEES1_S3_EELb1EEEvPS1_PS2_i,"axG",@progbits,_ZN4vllm18act_and_mul_kernelIfTnPFT_RKS1_EXadL_ZNS_11silu_kernelIfEES1_S3_EELb1EEEvPS1_PS2_i,comdat
.Lfunc_end0:
	.size	_ZN4vllm18act_and_mul_kernelIfTnPFT_RKS1_EXadL_ZNS_11silu_kernelIfEES1_S3_EELb1EEEvPS1_PS2_i, .Lfunc_end0-_ZN4vllm18act_and_mul_kernelIfTnPFT_RKS1_EXadL_ZNS_11silu_kernelIfEES1_S3_EELb1EEEvPS1_PS2_i
                                        ; -- End function
	.set _ZN4vllm18act_and_mul_kernelIfTnPFT_RKS1_EXadL_ZNS_11silu_kernelIfEES1_S3_EELb1EEEvPS1_PS2_i.num_vgpr, 31
	.set _ZN4vllm18act_and_mul_kernelIfTnPFT_RKS1_EXadL_ZNS_11silu_kernelIfEES1_S3_EELb1EEEvPS1_PS2_i.num_agpr, 0
	.set _ZN4vllm18act_and_mul_kernelIfTnPFT_RKS1_EXadL_ZNS_11silu_kernelIfEES1_S3_EELb1EEEvPS1_PS2_i.numbered_sgpr, 20
	.set _ZN4vllm18act_and_mul_kernelIfTnPFT_RKS1_EXadL_ZNS_11silu_kernelIfEES1_S3_EELb1EEEvPS1_PS2_i.num_named_barrier, 0
	.set _ZN4vllm18act_and_mul_kernelIfTnPFT_RKS1_EXadL_ZNS_11silu_kernelIfEES1_S3_EELb1EEEvPS1_PS2_i.private_seg_size, 0
	.set _ZN4vllm18act_and_mul_kernelIfTnPFT_RKS1_EXadL_ZNS_11silu_kernelIfEES1_S3_EELb1EEEvPS1_PS2_i.uses_vcc, 1
	.set _ZN4vllm18act_and_mul_kernelIfTnPFT_RKS1_EXadL_ZNS_11silu_kernelIfEES1_S3_EELb1EEEvPS1_PS2_i.uses_flat_scratch, 0
	.set _ZN4vllm18act_and_mul_kernelIfTnPFT_RKS1_EXadL_ZNS_11silu_kernelIfEES1_S3_EELb1EEEvPS1_PS2_i.has_dyn_sized_stack, 0
	.set _ZN4vllm18act_and_mul_kernelIfTnPFT_RKS1_EXadL_ZNS_11silu_kernelIfEES1_S3_EELb1EEEvPS1_PS2_i.has_recursion, 0
	.set _ZN4vllm18act_and_mul_kernelIfTnPFT_RKS1_EXadL_ZNS_11silu_kernelIfEES1_S3_EELb1EEEvPS1_PS2_i.has_indirect_call, 0
	.section	.AMDGPU.csdata,"",@progbits
; Kernel info:
; codeLenInByte = 1068
; TotalNumSgprs: 26
; NumVgprs: 31
; NumAgprs: 0
; TotalNumVgprs: 31
; ScratchSize: 0
; MemoryBound: 0
; FloatMode: 240
; IeeeMode: 1
; LDSByteSize: 0 bytes/workgroup (compile time only)
; SGPRBlocks: 3
; VGPRBlocks: 3
; NumSGPRsForWavesPerEU: 26
; NumVGPRsForWavesPerEU: 31
; AccumOffset: 32
; Occupancy: 8
; WaveLimiterHint : 0
; COMPUTE_PGM_RSRC2:SCRATCH_EN: 0
; COMPUTE_PGM_RSRC2:USER_SGPR: 2
; COMPUTE_PGM_RSRC2:TRAP_HANDLER: 0
; COMPUTE_PGM_RSRC2:TGID_X_EN: 1
; COMPUTE_PGM_RSRC2:TGID_Y_EN: 0
; COMPUTE_PGM_RSRC2:TGID_Z_EN: 0
; COMPUTE_PGM_RSRC2:TIDIG_COMP_CNT: 0
; COMPUTE_PGM_RSRC3_GFX90A:ACCUM_OFFSET: 7
; COMPUTE_PGM_RSRC3_GFX90A:TG_SPLIT: 0
	.section	.text._ZN4vllm18act_and_mul_kernelIN3c104HalfETnPFT_RKS3_EXadL_ZNS_11silu_kernelIS2_EES3_S5_EELb1EEEvPS3_PS4_i,"axG",@progbits,_ZN4vllm18act_and_mul_kernelIN3c104HalfETnPFT_RKS3_EXadL_ZNS_11silu_kernelIS2_EES3_S5_EELb1EEEvPS3_PS4_i,comdat
	.protected	_ZN4vllm18act_and_mul_kernelIN3c104HalfETnPFT_RKS3_EXadL_ZNS_11silu_kernelIS2_EES3_S5_EELb1EEEvPS3_PS4_i ; -- Begin function _ZN4vllm18act_and_mul_kernelIN3c104HalfETnPFT_RKS3_EXadL_ZNS_11silu_kernelIS2_EES3_S5_EELb1EEEvPS3_PS4_i
	.globl	_ZN4vllm18act_and_mul_kernelIN3c104HalfETnPFT_RKS3_EXadL_ZNS_11silu_kernelIS2_EES3_S5_EELb1EEEvPS3_PS4_i
	.p2align	8
	.type	_ZN4vllm18act_and_mul_kernelIN3c104HalfETnPFT_RKS3_EXadL_ZNS_11silu_kernelIS2_EES3_S5_EELb1EEEvPS3_PS4_i,@function
_ZN4vllm18act_and_mul_kernelIN3c104HalfETnPFT_RKS3_EXadL_ZNS_11silu_kernelIS2_EES3_S5_EELb1EEEvPS3_PS4_i: ; @_ZN4vllm18act_and_mul_kernelIN3c104HalfETnPFT_RKS3_EXadL_ZNS_11silu_kernelIS2_EES3_S5_EELb1EEEvPS3_PS4_i
; %bb.0:
	s_load_dword s6, s[0:1], 0x10
	s_waitcnt lgkmcnt(0)
	v_cmp_gt_i32_e32 vcc, s6, v0
	s_and_saveexec_b64 s[4:5], vcc
	s_cbranch_execz .LBB1_8
; %bb.1:
	v_mov_b32_e32 v1, 0
	s_load_dwordx4 s[8:11], s[0:1], 0x0
	s_load_dword s4, s[0:1], 0x24
	s_ashr_i32 s7, s6, 31
	v_add_u32_e32 v2, 1, v0
	v_mov_b32_e32 v3, v1
	v_mov_b32_e32 v4, s7
	v_cmp_lt_i64_e32 vcc, s[6:7], v[2:3]
	s_mul_hi_u32 s3, s2, s6
	s_mul_i32 s0, s2, s7
	v_cndmask_b32_e64 v3, v4, 0, vcc
	v_mov_b32_e32 v4, s6
	s_add_i32 s15, s3, s0
	s_mul_i32 s14, s2, s6
	v_cndmask_b32_e32 v2, v4, v2, vcc
	s_lshl_b64 s[16:17], s[14:15], 2
	s_waitcnt lgkmcnt(0)
	s_and_b32 s12, s4, 0xffff
	v_sub_co_u32_e32 v2, vcc, v2, v0
	s_cmp_eq_u32 s12, 1
	s_nop 0
	v_subbrev_co_u32_e32 v3, vcc, 0, v3, vcc
	v_cmp_lt_u64_e32 vcc, 3, v[2:3]
	s_cselect_b64 s[0:1], -1, 0
	s_and_b64 s[4:5], vcc, s[0:1]
	s_mov_b64 s[0:1], -1
	s_and_saveexec_b64 s[18:19], s[4:5]
	s_cbranch_execz .LBB1_5
; %bb.2:
	s_lshl_b64 s[0:1], s[14:15], 1
	s_add_u32 s0, s8, s0
	s_mov_b32 s3, 0
	v_lshlrev_b64 v[10:11], 1, v[0:1]
	s_addc_u32 s1, s9, s1
	v_lshl_add_u64 v[6:7], s[0:1], 0, v[10:11]
	s_lshl_b64 s[0:1], s[2:3], 2
	s_or_b32 s0, s0, 2
	s_mul_i32 s2, s0, s7
	s_mul_hi_u32 s3, s0, s6
	s_add_i32 s2, s3, s2
	s_mul_i32 s1, s1, s6
	s_add_i32 s2, s2, s1
	s_mul_i32 s0, s0, s6
	s_add_u32 s0, s10, s0
	s_addc_u32 s1, s11, s2
	v_lshl_add_u64 v[8:9], s[0:1], 0, v[10:11]
	s_add_u32 s0, s10, s16
	v_and_b32_e32 v4, -4, v2
	v_mov_b32_e32 v5, v3
	s_addc_u32 s1, s11, s17
	v_lshl_add_u64 v[10:11], s[0:1], 0, v[10:11]
	s_mov_b64 s[20:21], 0
	s_mov_b32 s13, 0x3fb8aa3b
	s_mov_b32 s22, 0x32a5705f
	;; [unrolled: 1-line block ×4, first 2 shown]
	v_mov_b32_e32 v18, 0x7f800000
	v_mov_b64_e32 v[12:13], v[4:5]
.LBB1_3:                                ; =>This Inner Loop Header: Depth=1
	global_load_dwordx2 v[16:17], v[10:11], off
	global_load_dwordx2 v[14:15], v[8:9], off
	v_lshl_add_u64 v[12:13], v[12:13], 0, -4
	v_cmp_eq_u64_e32 vcc, 0, v[12:13]
	s_or_b64 s[20:21], vcc, s[20:21]
	v_lshl_add_u64 v[8:9], v[8:9], 0, 8
	v_lshl_add_u64 v[10:11], v[10:11], 0, 8
	s_waitcnt vmcnt(1)
	v_cvt_f32_f16_e64 v20, -v17
	v_cvt_f32_f16_sdwa v21, -v17 dst_sel:DWORD dst_unused:UNUSED_PAD src0_sel:WORD_1
	v_cvt_f32_f16_e64 v25, -v16
	v_cvt_f32_f16_sdwa v26, -v16 dst_sel:DWORD dst_unused:UNUSED_PAD src0_sel:WORD_1
	v_mul_f32_e32 v27, 0x3fb8aa3b, v20
	v_mul_f32_e32 v28, 0x3fb8aa3b, v21
	;; [unrolled: 1-line block ×4, first 2 shown]
	v_rndne_f32_e32 v31, v27
	v_fma_mix_f32 v32, -v17, s13, -v27 op_sel_hi:[1,0,0]
	v_rndne_f32_e32 v33, v28
	v_fma_mix_f32 v34, -v17, s13, -v28 op_sel:[1,0,0] op_sel_hi:[1,0,0]
	v_cvt_f32_f16_sdwa v22, v17 dst_sel:DWORD dst_unused:UNUSED_PAD src0_sel:WORD_1
	v_cvt_f32_f16_e32 v24, v17
	v_rndne_f32_e32 v35, v29
	v_fma_mix_f32 v36, -v16, s13, -v29 op_sel_hi:[1,0,0]
	v_rndne_f32_e32 v37, v30
	v_fma_mix_f32 v38, -v16, s13, -v30 op_sel:[1,0,0] op_sel_hi:[1,0,0]
	v_sub_f32_e32 v27, v27, v31
	v_fma_mix_f32 v32, -v17, s22, v32 op_sel_hi:[1,0,0]
	v_sub_f32_e32 v28, v28, v33
	v_fma_mix_f32 v17, -v17, s22, v34 op_sel:[1,0,0] op_sel_hi:[1,0,0]
	v_cvt_f32_f16_sdwa v19, v16 dst_sel:DWORD dst_unused:UNUSED_PAD src0_sel:WORD_1
	v_cvt_f32_f16_e32 v23, v16
	v_sub_f32_e32 v29, v29, v35
	v_fma_mix_f32 v34, -v16, s22, v36 op_sel_hi:[1,0,0]
	v_sub_f32_e32 v30, v30, v37
	v_fma_mix_f32 v16, -v16, s22, v38 op_sel:[1,0,0] op_sel_hi:[1,0,0]
	v_add_f32_e32 v27, v27, v32
	v_add_f32_e32 v17, v28, v17
	v_cvt_i32_f32_e32 v31, v31
	v_cvt_i32_f32_e32 v33, v33
	v_add_f32_e32 v28, v29, v34
	v_add_f32_e32 v16, v30, v16
	v_exp_f32_e32 v27, v27
	v_exp_f32_e32 v17, v17
	v_cvt_i32_f32_e32 v35, v35
	v_cvt_i32_f32_e32 v36, v37
	v_exp_f32_e32 v28, v28
	v_exp_f32_e32 v16, v16
	v_ldexp_f32 v27, v27, v31
	v_ldexp_f32 v17, v17, v33
	v_cmp_ngt_f32_e32 vcc, s23, v21
	v_cmp_ngt_f32_e64 s[4:5], s23, v20
	v_ldexp_f32 v28, v28, v35
	v_cmp_ngt_f32_e64 s[0:1], s23, v25
	v_ldexp_f32 v16, v16, v36
	v_cmp_ngt_f32_e64 s[2:3], s23, v26
	v_cndmask_b32_e64 v27, 0, v27, s[4:5]
	v_cndmask_b32_e32 v17, 0, v17, vcc
	v_cmp_nlt_f32_e32 vcc, s24, v21
	v_cmp_nlt_f32_e64 s[4:5], s24, v20
	v_cndmask_b32_e64 v21, 0, v28, s[0:1]
	v_cmp_nlt_f32_e64 s[0:1], s24, v25
	v_cndmask_b32_e64 v25, 0, v16, s[2:3]
	v_cndmask_b32_e64 v16, v18, v27, s[4:5]
	v_cndmask_b32_e32 v17, v18, v17, vcc
	v_cmp_nlt_f32_e64 s[2:3], s24, v26
	v_pk_add_f32 v[16:17], v[16:17], 1.0 op_sel_hi:[1,0]
	v_cndmask_b32_e64 v20, v18, v21, s[0:1]
	v_cndmask_b32_e64 v21, v18, v25, s[2:3]
	v_div_scale_f32 v25, s[0:1], v17, v17, v22
	v_pk_add_f32 v[20:21], v[20:21], 1.0 op_sel_hi:[1,0]
	v_div_scale_f32 v27, s[0:1], v16, v16, v24
	v_rcp_f32_e32 v33, v25
	v_div_scale_f32 v29, s[2:3], v21, v21, v19
	v_rcp_f32_e32 v34, v27
	;; [unrolled: 2-line block ×3, first 2 shown]
	v_rcp_f32_e32 v36, v31
	v_fma_f32 v37, -v25, v33, 1.0
	v_div_scale_f32 v26, vcc, v22, v17, v22
	v_fma_f32 v38, -v27, v34, 1.0
	v_fmac_f32_e32 v33, v37, v33
	v_div_scale_f32 v28, s[0:1], v24, v16, v24
	v_fma_f32 v39, -v29, v35, 1.0
	v_fmac_f32_e32 v34, v38, v34
	v_mul_f32_e32 v37, v26, v33
	v_div_scale_f32 v30, s[2:3], v19, v21, v19
	v_fma_f32 v40, -v31, v36, 1.0
	v_fmac_f32_e32 v35, v39, v35
	v_mul_f32_e32 v38, v28, v34
	v_fma_f32 v41, -v25, v37, v26
	v_div_scale_f32 v32, s[4:5], v23, v20, v23
	v_fmac_f32_e32 v36, v40, v36
	v_mul_f32_e32 v39, v30, v35
	v_fma_f32 v42, -v27, v38, v28
	v_fmac_f32_e32 v37, v41, v33
	v_mul_f32_e32 v40, v32, v36
	v_fma_f32 v43, -v29, v39, v30
	v_fmac_f32_e32 v38, v42, v34
	v_fma_f32 v25, -v25, v37, v26
	v_fma_f32 v44, -v31, v40, v32
	v_fmac_f32_e32 v39, v43, v35
	v_fma_f32 v26, -v27, v38, v28
	v_div_fmas_f32 v25, v25, v33, v37
	s_mov_b64 vcc, s[0:1]
	v_fmac_f32_e32 v40, v44, v36
	v_fma_f32 v27, -v29, v39, v30
	v_div_fixup_f32 v17, v25, v17, v22
	v_div_fmas_f32 v22, v26, v34, v38
	s_mov_b64 vcc, s[2:3]
	v_fma_f32 v28, -v31, v40, v32
	v_div_fixup_f32 v16, v22, v16, v24
	v_div_fmas_f32 v22, v27, v35, v39
	s_mov_b64 vcc, s[4:5]
	v_div_fixup_f32 v19, v22, v21, v19
	v_div_fmas_f32 v21, v28, v36, v40
	v_cvt_pk_f16_f32 v16, v16, v17
	v_div_fixup_f32 v17, v21, v20, v23
	s_waitcnt vmcnt(0)
	v_pk_mul_f16 v15, v15, v16
	v_cvt_pk_f16_f32 v16, v17, v19
	v_pk_mul_f16 v14, v14, v16
	global_store_dwordx2 v[6:7], v[14:15], off
	v_lshl_add_u64 v[6:7], v[6:7], 0, 8
	s_andn2_b64 exec, exec, s[20:21]
	s_cbranch_execnz .LBB1_3
; %bb.4:
	s_or_b64 exec, exec, s[20:21]
	v_cmp_ne_u64_e32 vcc, v[2:3], v[4:5]
	v_lshl_add_u64 v[0:1], v[4:5], 0, v[0:1]
	s_orn2_b64 s[0:1], vcc, exec
.LBB1_5:
	s_or_b64 exec, exec, s[18:19]
	s_and_b64 exec, exec, s[0:1]
	s_cbranch_execz .LBB1_8
; %bb.6:
	s_add_u32 s0, s10, s16
	s_addc_u32 s1, s11, s17
	s_lshl_b64 s[2:3], s[6:7], 1
	s_add_u32 s2, s0, s2
	s_addc_u32 s3, s1, s3
	s_lshl_b64 s[4:5], s[14:15], 1
	s_add_u32 s4, s8, s4
	s_mov_b32 s13, 0
	s_addc_u32 s5, s9, s5
	v_lshlrev_b64 v[2:3], 1, v[0:1]
	s_lshl_b32 s8, s12, 1
	s_mov_b32 s9, s13
	s_mov_b64 s[10:11], 0
	s_mov_b32 s14, 0x3fb8aa3b
	s_mov_b32 s15, 0x32a5705f
	;; [unrolled: 1-line block ×4, first 2 shown]
	v_mov_b32_e32 v4, 0x7f800000
.LBB1_7:                                ; =>This Inner Loop Header: Depth=1
	v_lshl_add_u64 v[6:7], s[0:1], 0, v[2:3]
	global_load_ushort v5, v[6:7], off
	v_lshl_add_u64 v[6:7], s[2:3], 0, v[2:3]
	global_load_ushort v8, v[6:7], off
	v_lshl_add_u64 v[0:1], v[0:1], 0, s[12:13]
	v_lshl_add_u64 v[6:7], s[4:5], 0, v[2:3]
	;; [unrolled: 1-line block ×3, first 2 shown]
	s_waitcnt vmcnt(1)
	v_cvt_f32_f16_e64 v9, -v5
	v_cvt_f32_f16_e32 v10, v5
	v_mul_f32_e32 v11, 0x3fb8aa3b, v9
	v_fma_mix_f32 v12, -v5, s14, -v11 op_sel_hi:[1,0,0]
	v_rndne_f32_e32 v13, v11
	v_fma_mix_f32 v5, -v5, s15, v12 op_sel_hi:[1,0,0]
	v_sub_f32_e32 v11, v11, v13
	v_add_f32_e32 v5, v11, v5
	v_cvt_i32_f32_e32 v12, v13
	v_exp_f32_e32 v5, v5
	v_cmp_ngt_f32_e32 vcc, s16, v9
	v_ldexp_f32 v5, v5, v12
	s_nop 0
	v_cndmask_b32_e32 v5, 0, v5, vcc
	v_cmp_nlt_f32_e32 vcc, s17, v9
	s_nop 1
	v_cndmask_b32_e32 v5, v4, v5, vcc
	v_add_f32_e32 v5, 1.0, v5
	v_div_scale_f32 v9, s[18:19], v5, v5, v10
	v_rcp_f32_e32 v11, v9
	v_div_scale_f32 v12, vcc, v10, v5, v10
	v_fma_f32 v13, -v9, v11, 1.0
	v_fmac_f32_e32 v11, v13, v11
	v_mul_f32_e32 v13, v12, v11
	v_fma_f32 v14, -v9, v13, v12
	v_fmac_f32_e32 v13, v14, v11
	v_fma_f32 v9, -v9, v13, v12
	v_div_fmas_f32 v9, v9, v11, v13
	v_div_fixup_f32 v5, v9, v5, v10
	v_cvt_f16_f32_e32 v5, v5
	v_cmp_le_i64_e32 vcc, s[6:7], v[0:1]
	s_or_b64 s[10:11], vcc, s[10:11]
	s_waitcnt vmcnt(0)
	v_mul_f16_e32 v5, v8, v5
	global_store_short v[6:7], v5, off
	s_andn2_b64 exec, exec, s[10:11]
	s_cbranch_execnz .LBB1_7
.LBB1_8:
	s_endpgm
	.section	.rodata,"a",@progbits
	.p2align	6, 0x0
	.amdhsa_kernel _ZN4vllm18act_and_mul_kernelIN3c104HalfETnPFT_RKS3_EXadL_ZNS_11silu_kernelIS2_EES3_S5_EELb1EEEvPS3_PS4_i
		.amdhsa_group_segment_fixed_size 0
		.amdhsa_private_segment_fixed_size 0
		.amdhsa_kernarg_size 280
		.amdhsa_user_sgpr_count 2
		.amdhsa_user_sgpr_dispatch_ptr 0
		.amdhsa_user_sgpr_queue_ptr 0
		.amdhsa_user_sgpr_kernarg_segment_ptr 1
		.amdhsa_user_sgpr_dispatch_id 0
		.amdhsa_user_sgpr_kernarg_preload_length 0
		.amdhsa_user_sgpr_kernarg_preload_offset 0
		.amdhsa_user_sgpr_private_segment_size 0
		.amdhsa_uses_dynamic_stack 0
		.amdhsa_enable_private_segment 0
		.amdhsa_system_sgpr_workgroup_id_x 1
		.amdhsa_system_sgpr_workgroup_id_y 0
		.amdhsa_system_sgpr_workgroup_id_z 0
		.amdhsa_system_sgpr_workgroup_info 0
		.amdhsa_system_vgpr_workitem_id 0
		.amdhsa_next_free_vgpr 45
		.amdhsa_next_free_sgpr 25
		.amdhsa_accum_offset 48
		.amdhsa_reserve_vcc 1
		.amdhsa_float_round_mode_32 0
		.amdhsa_float_round_mode_16_64 0
		.amdhsa_float_denorm_mode_32 3
		.amdhsa_float_denorm_mode_16_64 3
		.amdhsa_dx10_clamp 1
		.amdhsa_ieee_mode 1
		.amdhsa_fp16_overflow 0
		.amdhsa_tg_split 0
		.amdhsa_exception_fp_ieee_invalid_op 0
		.amdhsa_exception_fp_denorm_src 0
		.amdhsa_exception_fp_ieee_div_zero 0
		.amdhsa_exception_fp_ieee_overflow 0
		.amdhsa_exception_fp_ieee_underflow 0
		.amdhsa_exception_fp_ieee_inexact 0
		.amdhsa_exception_int_div_zero 0
	.end_amdhsa_kernel
	.section	.text._ZN4vllm18act_and_mul_kernelIN3c104HalfETnPFT_RKS3_EXadL_ZNS_11silu_kernelIS2_EES3_S5_EELb1EEEvPS3_PS4_i,"axG",@progbits,_ZN4vllm18act_and_mul_kernelIN3c104HalfETnPFT_RKS3_EXadL_ZNS_11silu_kernelIS2_EES3_S5_EELb1EEEvPS3_PS4_i,comdat
.Lfunc_end1:
	.size	_ZN4vllm18act_and_mul_kernelIN3c104HalfETnPFT_RKS3_EXadL_ZNS_11silu_kernelIS2_EES3_S5_EELb1EEEvPS3_PS4_i, .Lfunc_end1-_ZN4vllm18act_and_mul_kernelIN3c104HalfETnPFT_RKS3_EXadL_ZNS_11silu_kernelIS2_EES3_S5_EELb1EEEvPS3_PS4_i
                                        ; -- End function
	.set _ZN4vllm18act_and_mul_kernelIN3c104HalfETnPFT_RKS3_EXadL_ZNS_11silu_kernelIS2_EES3_S5_EELb1EEEvPS3_PS4_i.num_vgpr, 45
	.set _ZN4vllm18act_and_mul_kernelIN3c104HalfETnPFT_RKS3_EXadL_ZNS_11silu_kernelIS2_EES3_S5_EELb1EEEvPS3_PS4_i.num_agpr, 0
	.set _ZN4vllm18act_and_mul_kernelIN3c104HalfETnPFT_RKS3_EXadL_ZNS_11silu_kernelIS2_EES3_S5_EELb1EEEvPS3_PS4_i.numbered_sgpr, 25
	.set _ZN4vllm18act_and_mul_kernelIN3c104HalfETnPFT_RKS3_EXadL_ZNS_11silu_kernelIS2_EES3_S5_EELb1EEEvPS3_PS4_i.num_named_barrier, 0
	.set _ZN4vllm18act_and_mul_kernelIN3c104HalfETnPFT_RKS3_EXadL_ZNS_11silu_kernelIS2_EES3_S5_EELb1EEEvPS3_PS4_i.private_seg_size, 0
	.set _ZN4vllm18act_and_mul_kernelIN3c104HalfETnPFT_RKS3_EXadL_ZNS_11silu_kernelIS2_EES3_S5_EELb1EEEvPS3_PS4_i.uses_vcc, 1
	.set _ZN4vllm18act_and_mul_kernelIN3c104HalfETnPFT_RKS3_EXadL_ZNS_11silu_kernelIS2_EES3_S5_EELb1EEEvPS3_PS4_i.uses_flat_scratch, 0
	.set _ZN4vllm18act_and_mul_kernelIN3c104HalfETnPFT_RKS3_EXadL_ZNS_11silu_kernelIS2_EES3_S5_EELb1EEEvPS3_PS4_i.has_dyn_sized_stack, 0
	.set _ZN4vllm18act_and_mul_kernelIN3c104HalfETnPFT_RKS3_EXadL_ZNS_11silu_kernelIS2_EES3_S5_EELb1EEEvPS3_PS4_i.has_recursion, 0
	.set _ZN4vllm18act_and_mul_kernelIN3c104HalfETnPFT_RKS3_EXadL_ZNS_11silu_kernelIS2_EES3_S5_EELb1EEEvPS3_PS4_i.has_indirect_call, 0
	.section	.AMDGPU.csdata,"",@progbits
; Kernel info:
; codeLenInByte = 1500
; TotalNumSgprs: 31
; NumVgprs: 45
; NumAgprs: 0
; TotalNumVgprs: 45
; ScratchSize: 0
; MemoryBound: 0
; FloatMode: 240
; IeeeMode: 1
; LDSByteSize: 0 bytes/workgroup (compile time only)
; SGPRBlocks: 3
; VGPRBlocks: 5
; NumSGPRsForWavesPerEU: 31
; NumVGPRsForWavesPerEU: 45
; AccumOffset: 48
; Occupancy: 8
; WaveLimiterHint : 0
; COMPUTE_PGM_RSRC2:SCRATCH_EN: 0
; COMPUTE_PGM_RSRC2:USER_SGPR: 2
; COMPUTE_PGM_RSRC2:TRAP_HANDLER: 0
; COMPUTE_PGM_RSRC2:TGID_X_EN: 1
; COMPUTE_PGM_RSRC2:TGID_Y_EN: 0
; COMPUTE_PGM_RSRC2:TGID_Z_EN: 0
; COMPUTE_PGM_RSRC2:TIDIG_COMP_CNT: 0
; COMPUTE_PGM_RSRC3_GFX90A:ACCUM_OFFSET: 11
; COMPUTE_PGM_RSRC3_GFX90A:TG_SPLIT: 0
	.section	.text._ZN4vllm18act_and_mul_kernelIN3c108BFloat16ETnPFT_RKS3_EXadL_ZNS_11silu_kernelIS2_EES3_S5_EELb1EEEvPS3_PS4_i,"axG",@progbits,_ZN4vllm18act_and_mul_kernelIN3c108BFloat16ETnPFT_RKS3_EXadL_ZNS_11silu_kernelIS2_EES3_S5_EELb1EEEvPS3_PS4_i,comdat
	.protected	_ZN4vllm18act_and_mul_kernelIN3c108BFloat16ETnPFT_RKS3_EXadL_ZNS_11silu_kernelIS2_EES3_S5_EELb1EEEvPS3_PS4_i ; -- Begin function _ZN4vllm18act_and_mul_kernelIN3c108BFloat16ETnPFT_RKS3_EXadL_ZNS_11silu_kernelIS2_EES3_S5_EELb1EEEvPS3_PS4_i
	.globl	_ZN4vllm18act_and_mul_kernelIN3c108BFloat16ETnPFT_RKS3_EXadL_ZNS_11silu_kernelIS2_EES3_S5_EELb1EEEvPS3_PS4_i
	.p2align	8
	.type	_ZN4vllm18act_and_mul_kernelIN3c108BFloat16ETnPFT_RKS3_EXadL_ZNS_11silu_kernelIS2_EES3_S5_EELb1EEEvPS3_PS4_i,@function
_ZN4vllm18act_and_mul_kernelIN3c108BFloat16ETnPFT_RKS3_EXadL_ZNS_11silu_kernelIS2_EES3_S5_EELb1EEEvPS3_PS4_i: ; @_ZN4vllm18act_and_mul_kernelIN3c108BFloat16ETnPFT_RKS3_EXadL_ZNS_11silu_kernelIS2_EES3_S5_EELb1EEEvPS3_PS4_i
; %bb.0:
	s_load_dword s6, s[0:1], 0x10
	s_waitcnt lgkmcnt(0)
	v_cmp_gt_i32_e32 vcc, s6, v0
	s_and_saveexec_b64 s[4:5], vcc
	s_cbranch_execz .LBB2_8
; %bb.1:
	v_mov_b32_e32 v1, 0
	s_load_dwordx4 s[8:11], s[0:1], 0x0
	s_load_dword s4, s[0:1], 0x24
	s_ashr_i32 s7, s6, 31
	v_add_u32_e32 v2, 1, v0
	v_mov_b32_e32 v3, v1
	v_mov_b32_e32 v4, s7
	v_cmp_lt_i64_e32 vcc, s[6:7], v[2:3]
	s_mul_hi_u32 s3, s2, s6
	s_mul_i32 s0, s2, s7
	v_cndmask_b32_e64 v3, v4, 0, vcc
	v_mov_b32_e32 v4, s6
	s_add_i32 s15, s3, s0
	s_mul_i32 s14, s2, s6
	v_cndmask_b32_e32 v2, v4, v2, vcc
	s_lshl_b64 s[16:17], s[14:15], 2
	s_waitcnt lgkmcnt(0)
	s_and_b32 s12, s4, 0xffff
	v_sub_co_u32_e32 v2, vcc, v2, v0
	s_cmp_eq_u32 s12, 1
	s_nop 0
	v_subbrev_co_u32_e32 v3, vcc, 0, v3, vcc
	v_cmp_lt_u64_e32 vcc, 3, v[2:3]
	s_cselect_b64 s[0:1], -1, 0
	s_and_b64 s[4:5], vcc, s[0:1]
	s_mov_b64 s[0:1], -1
	s_and_saveexec_b64 s[18:19], s[4:5]
	s_cbranch_execz .LBB2_5
; %bb.2:
	s_lshl_b64 s[0:1], s[14:15], 1
	s_add_u32 s0, s8, s0
	s_mov_b32 s3, 0
	v_lshlrev_b64 v[10:11], 1, v[0:1]
	s_addc_u32 s1, s9, s1
	v_lshl_add_u64 v[6:7], s[0:1], 0, v[10:11]
	s_lshl_b64 s[0:1], s[2:3], 2
	s_or_b32 s0, s0, 2
	s_mul_i32 s2, s0, s7
	s_mul_hi_u32 s3, s0, s6
	s_add_i32 s2, s3, s2
	s_mul_i32 s1, s1, s6
	s_add_i32 s2, s2, s1
	s_mul_i32 s0, s0, s6
	s_add_u32 s0, s10, s0
	s_addc_u32 s1, s11, s2
	v_lshl_add_u64 v[8:9], s[0:1], 0, v[10:11]
	s_add_u32 s0, s10, s16
	v_and_b32_e32 v4, -4, v2
	v_mov_b32_e32 v5, v3
	s_addc_u32 s1, s11, s17
	v_lshl_add_u64 v[10:11], s[0:1], 0, v[10:11]
	s_mov_b64 s[20:21], 0
	s_movk_i32 s13, 0x7fff
	v_mov_b32_e32 v20, 0x7fc00000
	s_mov_b32 s22, 0x3fb8aa3b
	s_mov_b32 s23, 0xc2ce8ed0
	;; [unrolled: 1-line block ×3, first 2 shown]
	v_mov_b32_e32 v21, 0x7f800000
	v_mov_b32_e32 v22, 0x7fc0
	s_mov_b32 s25, 0x5040100
	v_mov_b64_e32 v[12:13], v[4:5]
.LBB2_3:                                ; =>This Inner Loop Header: Depth=1
	global_load_dwordx2 v[16:17], v[10:11], off
	global_load_dwordx2 v[14:15], v[8:9], off
	v_lshl_add_u64 v[12:13], v[12:13], 0, -4
	v_cmp_eq_u64_e32 vcc, 0, v[12:13]
	s_or_b64 s[20:21], vcc, s[20:21]
	v_lshl_add_u64 v[8:9], v[8:9], 0, 8
	v_lshl_add_u64 v[10:11], v[10:11], 0, 8
	s_waitcnt vmcnt(1)
	v_and_b32_e32 v23, 0xffff0000, v17
	v_lshlrev_b32_e32 v27, 16, v17
	v_and_b32_e32 v26, 0xffff0000, v16
	v_lshlrev_b32_e32 v28, 16, v16
	v_xor_b32_e32 v24, 0x80000000, v27
	v_xor_b32_e32 v25, 0x80000000, v23
	s_waitcnt vmcnt(0)
	v_and_b32_e32 v19, 0xffff0000, v15
	v_and_b32_e32 v17, 0xffff0000, v14
	v_lshlrev_b32_e32 v18, 16, v15
	v_lshlrev_b32_e32 v16, 16, v14
	v_xor_b32_e32 v14, 0x80000000, v28
	v_xor_b32_e32 v15, 0x80000000, v26
	v_bfe_u32 v29, v25, 16, 1
	v_bfe_u32 v30, v24, 16, 1
	;; [unrolled: 1-line block ×4, first 2 shown]
	v_add3_u32 v24, v24, v30, s13
	v_add3_u32 v25, v25, v29, s13
	;; [unrolled: 1-line block ×4, first 2 shown]
	v_and_b32_e32 v25, 0xffff0000, v25
	v_and_b32_e32 v24, 0xffff0000, v24
	v_cmp_o_f32_e64 s[0:1], v27, v27
	v_cmp_o_f32_e64 s[2:3], v23, v23
	v_and_b32_e32 v15, 0xffff0000, v15
	v_and_b32_e32 v14, 0xffff0000, v14
	v_cmp_o_f32_e32 vcc, v26, v26
	v_cmp_o_f32_e64 s[4:5], v28, v28
	v_cndmask_b32_e64 v24, v20, v24, s[0:1]
	v_cndmask_b32_e64 v25, v20, v25, s[2:3]
	;; [unrolled: 1-line block ×3, first 2 shown]
	v_cndmask_b32_e32 v15, v20, v15, vcc
	v_mul_f32_e32 v29, 0x3fb8aa3b, v25
	v_mul_f32_e32 v30, 0x3fb8aa3b, v24
	;; [unrolled: 1-line block ×4, first 2 shown]
	v_fma_f32 v33, v25, s22, -v29
	v_rndne_f32_e32 v34, v29
	v_fma_f32 v35, v24, s22, -v30
	v_rndne_f32_e32 v36, v30
	;; [unrolled: 2-line block ×4, first 2 shown]
	v_fmac_f32_e32 v33, 0x32a5705f, v25
	v_sub_f32_e32 v29, v29, v34
	v_fmac_f32_e32 v35, 0x32a5705f, v24
	v_sub_f32_e32 v30, v30, v36
	;; [unrolled: 2-line block ×4, first 2 shown]
	v_add_f32_e32 v29, v29, v33
	v_add_f32_e32 v30, v30, v35
	v_cvt_i32_f32_e32 v34, v34
	v_cvt_i32_f32_e32 v36, v36
	v_add_f32_e32 v31, v31, v37
	v_add_f32_e32 v32, v32, v39
	v_exp_f32_e32 v29, v29
	v_exp_f32_e32 v30, v30
	v_cvt_i32_f32_e32 v38, v38
	v_cvt_i32_f32_e32 v40, v40
	v_exp_f32_e32 v31, v31
	v_exp_f32_e32 v32, v32
	v_ldexp_f32 v29, v29, v34
	v_ldexp_f32 v30, v30, v36
	v_cmp_ngt_f32_e32 vcc, s23, v24
	v_cmp_ngt_f32_e64 s[4:5], s23, v25
	v_ldexp_f32 v31, v31, v38
	v_cmp_ngt_f32_e64 s[0:1], s23, v15
	v_ldexp_f32 v32, v32, v40
	v_cmp_ngt_f32_e64 s[2:3], s23, v14
	v_cndmask_b32_e64 v29, 0, v29, s[4:5]
	v_cndmask_b32_e32 v30, 0, v30, vcc
	v_cmp_nlt_f32_e32 vcc, s24, v24
	v_cmp_nlt_f32_e64 s[4:5], s24, v25
	v_cndmask_b32_e64 v24, 0, v31, s[0:1]
	v_cmp_nlt_f32_e64 s[0:1], s24, v15
	v_cndmask_b32_e64 v31, 0, v32, s[2:3]
	;; [unrolled: 2-line block ×3, first 2 shown]
	v_cndmask_b32_e32 v14, v21, v30, vcc
	v_pk_add_f32 v[14:15], v[14:15], 1.0 op_sel_hi:[1,0]
	v_cndmask_b32_e64 v25, v21, v24, s[0:1]
	v_cndmask_b32_e64 v24, v21, v31, s[2:3]
	v_div_scale_f32 v29, s[0:1], v15, v15, v23
	v_pk_add_f32 v[24:25], v[24:25], 1.0 op_sel_hi:[1,0]
	v_div_scale_f32 v31, s[0:1], v14, v14, v27
	v_rcp_f32_e32 v37, v29
	v_div_scale_f32 v33, s[2:3], v25, v25, v26
	v_rcp_f32_e32 v38, v31
	;; [unrolled: 2-line block ×3, first 2 shown]
	v_rcp_f32_e32 v40, v35
	v_fma_f32 v41, -v29, v37, 1.0
	v_div_scale_f32 v30, vcc, v23, v15, v23
	v_fma_f32 v42, -v31, v38, 1.0
	v_fmac_f32_e32 v37, v41, v37
	v_div_scale_f32 v32, s[0:1], v27, v14, v27
	v_fma_f32 v43, -v33, v39, 1.0
	v_fmac_f32_e32 v38, v42, v38
	v_mul_f32_e32 v41, v30, v37
	v_div_scale_f32 v34, s[2:3], v26, v25, v26
	v_fma_f32 v44, -v35, v40, 1.0
	v_fmac_f32_e32 v39, v43, v39
	v_mul_f32_e32 v42, v32, v38
	v_fma_f32 v45, -v29, v41, v30
	v_div_scale_f32 v36, s[4:5], v28, v24, v28
	v_fmac_f32_e32 v40, v44, v40
	v_mul_f32_e32 v43, v34, v39
	v_fma_f32 v46, -v31, v42, v32
	v_fmac_f32_e32 v41, v45, v37
	v_mul_f32_e32 v44, v36, v40
	v_fma_f32 v47, -v33, v43, v34
	v_fmac_f32_e32 v42, v46, v38
	v_fma_f32 v29, -v29, v41, v30
	v_fma_f32 v48, -v35, v44, v36
	v_fmac_f32_e32 v43, v47, v39
	v_fma_f32 v30, -v31, v42, v32
	v_div_fmas_f32 v29, v29, v37, v41
	s_mov_b64 vcc, s[0:1]
	v_fmac_f32_e32 v44, v48, v40
	v_fma_f32 v31, -v33, v43, v34
	v_div_fixup_f32 v15, v29, v15, v23
	v_div_fmas_f32 v23, v30, v38, v42
	s_mov_b64 vcc, s[2:3]
	v_fma_f32 v32, -v35, v44, v36
	v_div_fixup_f32 v14, v23, v14, v27
	v_div_fmas_f32 v23, v31, v39, v43
	v_bfe_u32 v27, v15, 16, 1
	s_mov_b64 vcc, s[4:5]
	v_div_fixup_f32 v23, v23, v25, v26
	v_div_fmas_f32 v25, v32, v40, v44
	v_bfe_u32 v26, v14, 16, 1
	v_add3_u32 v27, v15, v27, s13
	v_div_fixup_f32 v24, v25, v24, v28
	v_bfe_u32 v25, v23, 16, 1
	v_add3_u32 v26, v14, v26, s13
	v_and_b32_e32 v27, 0xffff0000, v27
	v_cmp_o_f32_e32 vcc, v15, v15
	v_bfe_u32 v28, v24, 16, 1
	v_add3_u32 v25, v23, v25, s13
	v_and_b32_e32 v26, 0xffff0000, v26
	v_cndmask_b32_e32 v15, v20, v27, vcc
	v_cmp_o_f32_e32 vcc, v14, v14
	v_add3_u32 v27, v24, v28, s13
	v_and_b32_e32 v25, 0xffff0000, v25
	v_cndmask_b32_e32 v14, v20, v26, vcc
	v_cmp_o_f32_e32 vcc, v23, v23
	v_and_b32_e32 v23, 0xffff0000, v27
	v_pk_mul_f32 v[14:15], v[14:15], v[18:19]
	v_cndmask_b32_e32 v25, v20, v25, vcc
	v_cmp_o_f32_e32 vcc, v24, v24
	v_bfe_u32 v18, v14, 16, 1
	v_bfe_u32 v19, v15, 16, 1
	v_cndmask_b32_e32 v24, v20, v23, vcc
	v_pk_mul_f32 v[16:17], v[24:25], v[16:17]
	v_add3_u32 v19, v15, v19, s13
	v_add3_u32 v18, v14, v18, s13
	v_bfe_u32 v23, v16, 16, 1
	v_bfe_u32 v24, v17, 16, 1
	v_lshrrev_b32_e32 v18, 16, v18
	v_lshrrev_b32_e32 v19, 16, v19
	v_cmp_o_f32_e32 vcc, v14, v14
	v_cmp_o_f32_e64 s[0:1], v15, v15
	v_add3_u32 v14, v17, v24, s13
	v_add3_u32 v15, v16, v23, s13
	v_cndmask_b32_e32 v18, v22, v18, vcc
	v_cndmask_b32_e64 v19, v22, v19, s[0:1]
	v_lshrrev_b32_e32 v23, 16, v15
	v_lshrrev_b32_e32 v14, 16, v14
	v_cmp_o_f32_e32 vcc, v17, v17
	v_cmp_o_f32_e64 s[0:1], v16, v16
	v_perm_b32 v15, v19, v18, s25
	v_cndmask_b32_e32 v14, v22, v14, vcc
	v_cndmask_b32_e64 v16, v22, v23, s[0:1]
	v_perm_b32 v14, v14, v16, s25
	global_store_dwordx2 v[6:7], v[14:15], off
	v_lshl_add_u64 v[6:7], v[6:7], 0, 8
	s_andn2_b64 exec, exec, s[20:21]
	s_cbranch_execnz .LBB2_3
; %bb.4:
	s_or_b64 exec, exec, s[20:21]
	v_cmp_ne_u64_e32 vcc, v[2:3], v[4:5]
	v_lshl_add_u64 v[0:1], v[4:5], 0, v[0:1]
	s_orn2_b64 s[0:1], vcc, exec
.LBB2_5:
	s_or_b64 exec, exec, s[18:19]
	s_and_b64 exec, exec, s[0:1]
	s_cbranch_execz .LBB2_8
; %bb.6:
	s_add_u32 s0, s10, s16
	s_addc_u32 s1, s11, s17
	s_lshl_b64 s[2:3], s[6:7], 1
	s_add_u32 s2, s0, s2
	s_addc_u32 s3, s1, s3
	s_lshl_b64 s[4:5], s[14:15], 1
	s_add_u32 s4, s8, s4
	s_mov_b32 s13, 0
	s_addc_u32 s5, s9, s5
	v_lshlrev_b64 v[2:3], 1, v[0:1]
	s_lshl_b32 s8, s12, 1
	s_mov_b32 s9, s13
	s_mov_b64 s[10:11], 0
	s_movk_i32 s14, 0x7fff
	v_mov_b32_e32 v4, 0x7fc00000
	s_mov_b32 s15, 0x3fb8aa3b
	s_mov_b32 s16, 0xc2ce8ed0
	;; [unrolled: 1-line block ×3, first 2 shown]
	v_mov_b32_e32 v5, 0x7f800000
	v_mov_b32_e32 v6, 0x7fc0
.LBB2_7:                                ; =>This Inner Loop Header: Depth=1
	v_lshl_add_u64 v[8:9], s[0:1], 0, v[2:3]
	v_lshl_add_u64 v[10:11], s[2:3], 0, v[2:3]
	global_load_ushort v7, v[8:9], off
	global_load_ushort v12, v[10:11], off
	v_lshl_add_u64 v[0:1], v[0:1], 0, s[12:13]
	v_cmp_le_i64_e32 vcc, s[6:7], v[0:1]
	s_or_b64 s[10:11], vcc, s[10:11]
	v_lshl_add_u64 v[8:9], s[4:5], 0, v[2:3]
	v_lshl_add_u64 v[2:3], v[2:3], 0, s[8:9]
	s_waitcnt vmcnt(1)
	v_lshlrev_b32_e32 v7, 16, v7
	v_xor_b32_e32 v11, 0x80000000, v7
	s_waitcnt vmcnt(0)
	v_lshlrev_b32_e32 v10, 16, v12
	v_bfe_u32 v12, v11, 16, 1
	v_add3_u32 v11, v11, v12, s14
	v_and_b32_e32 v11, 0xffff0000, v11
	v_cmp_o_f32_e32 vcc, v7, v7
	s_nop 1
	v_cndmask_b32_e32 v11, v4, v11, vcc
	v_mul_f32_e32 v12, 0x3fb8aa3b, v11
	v_fma_f32 v13, v11, s15, -v12
	v_rndne_f32_e32 v14, v12
	v_fmac_f32_e32 v13, 0x32a5705f, v11
	v_sub_f32_e32 v12, v12, v14
	v_add_f32_e32 v12, v12, v13
	v_cvt_i32_f32_e32 v14, v14
	v_exp_f32_e32 v12, v12
	v_cmp_ngt_f32_e32 vcc, s16, v11
	v_ldexp_f32 v12, v12, v14
	s_nop 0
	v_cndmask_b32_e32 v12, 0, v12, vcc
	v_cmp_nlt_f32_e32 vcc, s17, v11
	s_nop 1
	v_cndmask_b32_e32 v11, v5, v12, vcc
	v_add_f32_e32 v11, 1.0, v11
	v_div_scale_f32 v12, s[18:19], v11, v11, v7
	v_rcp_f32_e32 v14, v12
	v_div_scale_f32 v13, vcc, v7, v11, v7
	v_fma_f32 v15, -v12, v14, 1.0
	v_fmac_f32_e32 v14, v15, v14
	v_mul_f32_e32 v15, v13, v14
	v_fma_f32 v16, -v12, v15, v13
	v_fmac_f32_e32 v15, v16, v14
	v_fma_f32 v12, -v12, v15, v13
	v_div_fmas_f32 v12, v12, v14, v15
	v_div_fixup_f32 v7, v12, v11, v7
	v_bfe_u32 v11, v7, 16, 1
	v_add3_u32 v11, v7, v11, s14
	v_and_b32_e32 v11, 0xffff0000, v11
	v_cmp_o_f32_e32 vcc, v7, v7
	s_nop 1
	v_cndmask_b32_e32 v7, v4, v11, vcc
	v_mul_f32_e32 v7, v7, v10
	v_bfe_u32 v10, v7, 16, 1
	v_cmp_o_f32_e32 vcc, v7, v7
	v_add3_u32 v7, v7, v10, s14
	s_nop 0
	v_cndmask_b32_sdwa v7, v6, v7, vcc dst_sel:DWORD dst_unused:UNUSED_PAD src0_sel:DWORD src1_sel:WORD_1
	global_store_short v[8:9], v7, off
	s_andn2_b64 exec, exec, s[10:11]
	s_cbranch_execnz .LBB2_7
.LBB2_8:
	s_endpgm
	.section	.rodata,"a",@progbits
	.p2align	6, 0x0
	.amdhsa_kernel _ZN4vllm18act_and_mul_kernelIN3c108BFloat16ETnPFT_RKS3_EXadL_ZNS_11silu_kernelIS2_EES3_S5_EELb1EEEvPS3_PS4_i
		.amdhsa_group_segment_fixed_size 0
		.amdhsa_private_segment_fixed_size 0
		.amdhsa_kernarg_size 280
		.amdhsa_user_sgpr_count 2
		.amdhsa_user_sgpr_dispatch_ptr 0
		.amdhsa_user_sgpr_queue_ptr 0
		.amdhsa_user_sgpr_kernarg_segment_ptr 1
		.amdhsa_user_sgpr_dispatch_id 0
		.amdhsa_user_sgpr_kernarg_preload_length 0
		.amdhsa_user_sgpr_kernarg_preload_offset 0
		.amdhsa_user_sgpr_private_segment_size 0
		.amdhsa_uses_dynamic_stack 0
		.amdhsa_enable_private_segment 0
		.amdhsa_system_sgpr_workgroup_id_x 1
		.amdhsa_system_sgpr_workgroup_id_y 0
		.amdhsa_system_sgpr_workgroup_id_z 0
		.amdhsa_system_sgpr_workgroup_info 0
		.amdhsa_system_vgpr_workitem_id 0
		.amdhsa_next_free_vgpr 49
		.amdhsa_next_free_sgpr 26
		.amdhsa_accum_offset 52
		.amdhsa_reserve_vcc 1
		.amdhsa_float_round_mode_32 0
		.amdhsa_float_round_mode_16_64 0
		.amdhsa_float_denorm_mode_32 3
		.amdhsa_float_denorm_mode_16_64 3
		.amdhsa_dx10_clamp 1
		.amdhsa_ieee_mode 1
		.amdhsa_fp16_overflow 0
		.amdhsa_tg_split 0
		.amdhsa_exception_fp_ieee_invalid_op 0
		.amdhsa_exception_fp_denorm_src 0
		.amdhsa_exception_fp_ieee_div_zero 0
		.amdhsa_exception_fp_ieee_overflow 0
		.amdhsa_exception_fp_ieee_underflow 0
		.amdhsa_exception_fp_ieee_inexact 0
		.amdhsa_exception_int_div_zero 0
	.end_amdhsa_kernel
	.section	.text._ZN4vllm18act_and_mul_kernelIN3c108BFloat16ETnPFT_RKS3_EXadL_ZNS_11silu_kernelIS2_EES3_S5_EELb1EEEvPS3_PS4_i,"axG",@progbits,_ZN4vllm18act_and_mul_kernelIN3c108BFloat16ETnPFT_RKS3_EXadL_ZNS_11silu_kernelIS2_EES3_S5_EELb1EEEvPS3_PS4_i,comdat
.Lfunc_end2:
	.size	_ZN4vllm18act_and_mul_kernelIN3c108BFloat16ETnPFT_RKS3_EXadL_ZNS_11silu_kernelIS2_EES3_S5_EELb1EEEvPS3_PS4_i, .Lfunc_end2-_ZN4vllm18act_and_mul_kernelIN3c108BFloat16ETnPFT_RKS3_EXadL_ZNS_11silu_kernelIS2_EES3_S5_EELb1EEEvPS3_PS4_i
                                        ; -- End function
	.set _ZN4vllm18act_and_mul_kernelIN3c108BFloat16ETnPFT_RKS3_EXadL_ZNS_11silu_kernelIS2_EES3_S5_EELb1EEEvPS3_PS4_i.num_vgpr, 49
	.set _ZN4vllm18act_and_mul_kernelIN3c108BFloat16ETnPFT_RKS3_EXadL_ZNS_11silu_kernelIS2_EES3_S5_EELb1EEEvPS3_PS4_i.num_agpr, 0
	.set _ZN4vllm18act_and_mul_kernelIN3c108BFloat16ETnPFT_RKS3_EXadL_ZNS_11silu_kernelIS2_EES3_S5_EELb1EEEvPS3_PS4_i.numbered_sgpr, 26
	.set _ZN4vllm18act_and_mul_kernelIN3c108BFloat16ETnPFT_RKS3_EXadL_ZNS_11silu_kernelIS2_EES3_S5_EELb1EEEvPS3_PS4_i.num_named_barrier, 0
	.set _ZN4vllm18act_and_mul_kernelIN3c108BFloat16ETnPFT_RKS3_EXadL_ZNS_11silu_kernelIS2_EES3_S5_EELb1EEEvPS3_PS4_i.private_seg_size, 0
	.set _ZN4vllm18act_and_mul_kernelIN3c108BFloat16ETnPFT_RKS3_EXadL_ZNS_11silu_kernelIS2_EES3_S5_EELb1EEEvPS3_PS4_i.uses_vcc, 1
	.set _ZN4vllm18act_and_mul_kernelIN3c108BFloat16ETnPFT_RKS3_EXadL_ZNS_11silu_kernelIS2_EES3_S5_EELb1EEEvPS3_PS4_i.uses_flat_scratch, 0
	.set _ZN4vllm18act_and_mul_kernelIN3c108BFloat16ETnPFT_RKS3_EXadL_ZNS_11silu_kernelIS2_EES3_S5_EELb1EEEvPS3_PS4_i.has_dyn_sized_stack, 0
	.set _ZN4vllm18act_and_mul_kernelIN3c108BFloat16ETnPFT_RKS3_EXadL_ZNS_11silu_kernelIS2_EES3_S5_EELb1EEEvPS3_PS4_i.has_recursion, 0
	.set _ZN4vllm18act_and_mul_kernelIN3c108BFloat16ETnPFT_RKS3_EXadL_ZNS_11silu_kernelIS2_EES3_S5_EELb1EEEvPS3_PS4_i.has_indirect_call, 0
	.section	.AMDGPU.csdata,"",@progbits
; Kernel info:
; codeLenInByte = 2068
; TotalNumSgprs: 32
; NumVgprs: 49
; NumAgprs: 0
; TotalNumVgprs: 49
; ScratchSize: 0
; MemoryBound: 0
; FloatMode: 240
; IeeeMode: 1
; LDSByteSize: 0 bytes/workgroup (compile time only)
; SGPRBlocks: 3
; VGPRBlocks: 6
; NumSGPRsForWavesPerEU: 32
; NumVGPRsForWavesPerEU: 49
; AccumOffset: 52
; Occupancy: 8
; WaveLimiterHint : 0
; COMPUTE_PGM_RSRC2:SCRATCH_EN: 0
; COMPUTE_PGM_RSRC2:USER_SGPR: 2
; COMPUTE_PGM_RSRC2:TRAP_HANDLER: 0
; COMPUTE_PGM_RSRC2:TGID_X_EN: 1
; COMPUTE_PGM_RSRC2:TGID_Y_EN: 0
; COMPUTE_PGM_RSRC2:TGID_Z_EN: 0
; COMPUTE_PGM_RSRC2:TIDIG_COMP_CNT: 0
; COMPUTE_PGM_RSRC3_GFX90A:ACCUM_OFFSET: 12
; COMPUTE_PGM_RSRC3_GFX90A:TG_SPLIT: 0
	.section	.text._ZN4vllm18act_and_mul_kernelIfTnPFT_RKS1_EXadL_ZNS_11silu_kernelIfEES1_S3_EELb0EEEvPS1_PS2_i,"axG",@progbits,_ZN4vllm18act_and_mul_kernelIfTnPFT_RKS1_EXadL_ZNS_11silu_kernelIfEES1_S3_EELb0EEEvPS1_PS2_i,comdat
	.protected	_ZN4vllm18act_and_mul_kernelIfTnPFT_RKS1_EXadL_ZNS_11silu_kernelIfEES1_S3_EELb0EEEvPS1_PS2_i ; -- Begin function _ZN4vllm18act_and_mul_kernelIfTnPFT_RKS1_EXadL_ZNS_11silu_kernelIfEES1_S3_EELb0EEEvPS1_PS2_i
	.globl	_ZN4vllm18act_and_mul_kernelIfTnPFT_RKS1_EXadL_ZNS_11silu_kernelIfEES1_S3_EELb0EEEvPS1_PS2_i
	.p2align	8
	.type	_ZN4vllm18act_and_mul_kernelIfTnPFT_RKS1_EXadL_ZNS_11silu_kernelIfEES1_S3_EELb0EEEvPS1_PS2_i,@function
_ZN4vllm18act_and_mul_kernelIfTnPFT_RKS1_EXadL_ZNS_11silu_kernelIfEES1_S3_EELb0EEEvPS1_PS2_i: ; @_ZN4vllm18act_and_mul_kernelIfTnPFT_RKS1_EXadL_ZNS_11silu_kernelIfEES1_S3_EELb0EEEvPS1_PS2_i
; %bb.0:
	s_load_dword s8, s[0:1], 0x10
	s_waitcnt lgkmcnt(0)
	v_cmp_gt_i32_e32 vcc, s8, v0
	s_and_saveexec_b64 s[4:5], vcc
	s_cbranch_execz .LBB3_8
; %bb.1:
	v_mov_b32_e32 v1, 0
	s_load_dwordx4 s[4:7], s[0:1], 0x0
	s_load_dword s10, s[0:1], 0x24
	s_ashr_i32 s9, s8, 31
	v_add_u32_e32 v2, 1, v0
	v_mov_b32_e32 v3, v1
	v_mov_b32_e32 v4, s9
	v_cmp_lt_i64_e32 vcc, s[8:9], v[2:3]
	s_mul_hi_u32 s3, s2, s8
	s_mul_i32 s0, s2, s9
	v_cndmask_b32_e64 v3, v4, 0, vcc
	v_mov_b32_e32 v4, s8
	s_add_i32 s13, s3, s0
	s_mul_i32 s12, s2, s8
	v_cndmask_b32_e32 v2, v4, v2, vcc
	s_lshl_b64 s[14:15], s[12:13], 3
	s_waitcnt lgkmcnt(0)
	s_and_b32 s10, s10, 0xffff
	v_sub_co_u32_e32 v2, vcc, v2, v0
	s_cmp_eq_u32 s10, 1
	s_nop 0
	v_subbrev_co_u32_e32 v3, vcc, 0, v3, vcc
	v_cmp_lt_u64_e32 vcc, 1, v[2:3]
	s_cselect_b64 s[0:1], -1, 0
	s_and_b64 s[18:19], vcc, s[0:1]
	s_mov_b64 s[0:1], -1
	s_and_saveexec_b64 s[16:17], s[18:19]
	s_cbranch_execz .LBB3_5
; %bb.2:
	s_lshl_b64 s[0:1], s[12:13], 2
	s_add_u32 s0, s4, s0
	s_mov_b32 s3, 0
	v_lshlrev_b64 v[10:11], 2, v[0:1]
	s_addc_u32 s1, s5, s1
	v_lshl_add_u64 v[6:7], s[0:1], 0, v[10:11]
	s_lshl_b64 s[0:1], s[2:3], 3
	s_or_b32 s0, s0, 4
	s_mul_i32 s2, s0, s9
	s_mul_hi_u32 s3, s0, s8
	s_add_i32 s2, s3, s2
	s_mul_i32 s1, s1, s8
	s_add_i32 s2, s2, s1
	s_mul_i32 s0, s0, s8
	s_add_u32 s0, s6, s0
	s_addc_u32 s1, s7, s2
	v_lshl_add_u64 v[8:9], s[0:1], 0, v[10:11]
	s_add_u32 s0, s6, s14
	v_and_b32_e32 v4, -2, v2
	v_mov_b32_e32 v5, v3
	s_addc_u32 s1, s7, s15
	v_lshl_add_u64 v[10:11], s[0:1], 0, v[10:11]
	s_mov_b64 s[2:3], 0
	s_mov_b32 s11, 0xbfb8aa3b
	s_mov_b32 s18, 0x42ce8ed0
	s_mov_b32 s19, 0xc2b17218
	v_mov_b32_e32 v14, 0x7f800000
	v_mov_b64_e32 v[12:13], v[4:5]
.LBB3_3:                                ; =>This Inner Loop Header: Depth=1
	global_load_dwordx2 v[16:17], v[8:9], off
	global_load_dwordx2 v[18:19], v[10:11], off
	v_lshl_add_u64 v[12:13], v[12:13], 0, -2
	v_cmp_eq_u64_e32 vcc, 0, v[12:13]
	s_or_b64 s[2:3], vcc, s[2:3]
	v_lshl_add_u64 v[8:9], v[8:9], 0, 8
	v_lshl_add_u64 v[10:11], v[10:11], 0, 8
	s_waitcnt vmcnt(1)
	v_mul_f32_e32 v15, 0xbfb8aa3b, v17
	v_mul_f32_e32 v20, 0xbfb8aa3b, v16
	v_rndne_f32_e32 v21, v15
	v_fma_f32 v22, v17, s11, -v15
	v_rndne_f32_e32 v23, v20
	v_fma_f32 v24, v16, s11, -v20
	v_sub_f32_e32 v15, v15, v21
	v_fmac_f32_e32 v22, 0xb2a5705f, v17
	v_sub_f32_e32 v20, v20, v23
	v_fmac_f32_e32 v24, 0xb2a5705f, v16
	v_add_f32_e32 v15, v15, v22
	v_add_f32_e32 v20, v20, v24
	v_cvt_i32_f32_e32 v21, v21
	v_cvt_i32_f32_e32 v23, v23
	v_exp_f32_e32 v15, v15
	v_exp_f32_e32 v20, v20
	v_cmp_nlt_f32_e32 vcc, s18, v16
	v_cmp_nlt_f32_e64 s[0:1], s18, v17
	v_ldexp_f32 v15, v15, v21
	v_ldexp_f32 v20, v20, v23
	v_cndmask_b32_e64 v15, 0, v15, s[0:1]
	v_cndmask_b32_e32 v20, 0, v20, vcc
	v_cmp_ngt_f32_e32 vcc, s19, v16
	v_cmp_ngt_f32_e64 s[0:1], s19, v17
	s_nop 0
	v_cndmask_b32_e32 v20, v14, v20, vcc
	v_cndmask_b32_e64 v21, v14, v15, s[0:1]
	v_pk_add_f32 v[20:21], v[20:21], 1.0 op_sel_hi:[1,0]
	s_nop 0
	v_div_scale_f32 v15, s[0:1], v21, v21, v17
	v_div_scale_f32 v23, s[0:1], v20, v20, v16
	v_rcp_f32_e32 v25, v15
	v_rcp_f32_e32 v26, v23
	v_div_scale_f32 v22, vcc, v17, v21, v17
	v_fma_f32 v27, -v15, v25, 1.0
	v_fma_f32 v28, -v23, v26, 1.0
	v_fmac_f32_e32 v25, v27, v25
	v_div_scale_f32 v24, s[0:1], v16, v20, v16
	v_fmac_f32_e32 v26, v28, v26
	v_mul_f32_e32 v27, v22, v25
	v_mul_f32_e32 v28, v24, v26
	v_fma_f32 v29, -v15, v27, v22
	v_fma_f32 v30, -v23, v28, v24
	v_fmac_f32_e32 v27, v29, v25
	v_fmac_f32_e32 v28, v30, v26
	v_fma_f32 v15, -v15, v27, v22
	v_fma_f32 v22, -v23, v28, v24
	v_div_fmas_f32 v15, v15, v25, v27
	s_mov_b64 vcc, s[0:1]
	v_div_fixup_f32 v17, v15, v21, v17
	v_div_fmas_f32 v15, v22, v26, v28
	v_div_fixup_f32 v16, v15, v20, v16
	s_waitcnt vmcnt(0)
	v_pk_mul_f32 v[16:17], v[18:19], v[16:17]
	global_store_dwordx2 v[6:7], v[16:17], off
	v_lshl_add_u64 v[6:7], v[6:7], 0, 8
	s_andn2_b64 exec, exec, s[2:3]
	s_cbranch_execnz .LBB3_3
; %bb.4:
	s_or_b64 exec, exec, s[2:3]
	v_cmp_ne_u64_e32 vcc, v[2:3], v[4:5]
	v_lshl_add_u64 v[0:1], v[4:5], 0, v[0:1]
	s_orn2_b64 s[0:1], vcc, exec
.LBB3_5:
	s_or_b64 exec, exec, s[16:17]
	s_and_b64 exec, exec, s[0:1]
	s_cbranch_execz .LBB3_8
; %bb.6:
	s_add_u32 s0, s6, s14
	s_addc_u32 s1, s7, s15
	s_lshl_b64 s[2:3], s[8:9], 2
	s_add_u32 s2, s0, s2
	s_addc_u32 s3, s1, s3
	s_lshl_b64 s[6:7], s[12:13], 2
	s_add_u32 s4, s4, s6
	s_mov_b32 s11, 0
	s_addc_u32 s5, s5, s7
	v_lshlrev_b64 v[2:3], 2, v[0:1]
	s_lshl_b32 s6, s10, 2
	s_mov_b32 s7, s11
	s_mov_b64 s[12:13], 0
	s_mov_b32 s14, 0xbfb8aa3b
	s_mov_b32 s15, 0x42ce8ed0
	;; [unrolled: 1-line block ×3, first 2 shown]
	v_mov_b32_e32 v4, 0x7f800000
.LBB3_7:                                ; =>This Inner Loop Header: Depth=1
	v_lshl_add_u64 v[8:9], s[2:3], 0, v[2:3]
	v_lshl_add_u64 v[6:7], s[0:1], 0, v[2:3]
	global_load_dword v5, v[8:9], off
	global_load_dword v10, v[6:7], off
	v_lshl_add_u64 v[0:1], v[0:1], 0, s[10:11]
	v_cmp_le_i64_e32 vcc, s[8:9], v[0:1]
	s_or_b64 s[12:13], vcc, s[12:13]
	v_lshl_add_u64 v[6:7], s[4:5], 0, v[2:3]
	v_lshl_add_u64 v[2:3], v[2:3], 0, s[6:7]
	s_waitcnt vmcnt(1)
	v_mul_f32_e32 v8, 0xbfb8aa3b, v5
	v_fma_f32 v9, v5, s14, -v8
	v_rndne_f32_e32 v11, v8
	v_fmac_f32_e32 v9, 0xb2a5705f, v5
	v_sub_f32_e32 v8, v8, v11
	v_add_f32_e32 v8, v8, v9
	v_cvt_i32_f32_e32 v11, v11
	v_exp_f32_e32 v8, v8
	v_cmp_nlt_f32_e32 vcc, s15, v5
	v_ldexp_f32 v8, v8, v11
	s_nop 0
	v_cndmask_b32_e32 v8, 0, v8, vcc
	v_cmp_ngt_f32_e32 vcc, s16, v5
	s_nop 1
	v_cndmask_b32_e32 v8, v4, v8, vcc
	v_add_f32_e32 v8, 1.0, v8
	v_div_scale_f32 v9, s[18:19], v8, v8, v5
	v_rcp_f32_e32 v11, v9
	v_div_scale_f32 v12, vcc, v5, v8, v5
	v_fma_f32 v13, -v9, v11, 1.0
	v_fmac_f32_e32 v11, v13, v11
	v_mul_f32_e32 v13, v12, v11
	v_fma_f32 v14, -v9, v13, v12
	v_fmac_f32_e32 v13, v14, v11
	v_fma_f32 v9, -v9, v13, v12
	v_div_fmas_f32 v9, v9, v11, v13
	v_div_fixup_f32 v5, v9, v8, v5
	s_waitcnt vmcnt(0)
	v_mul_f32_e32 v5, v10, v5
	global_store_dword v[6:7], v5, off
	s_andn2_b64 exec, exec, s[12:13]
	s_cbranch_execnz .LBB3_7
.LBB3_8:
	s_endpgm
	.section	.rodata,"a",@progbits
	.p2align	6, 0x0
	.amdhsa_kernel _ZN4vllm18act_and_mul_kernelIfTnPFT_RKS1_EXadL_ZNS_11silu_kernelIfEES1_S3_EELb0EEEvPS1_PS2_i
		.amdhsa_group_segment_fixed_size 0
		.amdhsa_private_segment_fixed_size 0
		.amdhsa_kernarg_size 280
		.amdhsa_user_sgpr_count 2
		.amdhsa_user_sgpr_dispatch_ptr 0
		.amdhsa_user_sgpr_queue_ptr 0
		.amdhsa_user_sgpr_kernarg_segment_ptr 1
		.amdhsa_user_sgpr_dispatch_id 0
		.amdhsa_user_sgpr_kernarg_preload_length 0
		.amdhsa_user_sgpr_kernarg_preload_offset 0
		.amdhsa_user_sgpr_private_segment_size 0
		.amdhsa_uses_dynamic_stack 0
		.amdhsa_enable_private_segment 0
		.amdhsa_system_sgpr_workgroup_id_x 1
		.amdhsa_system_sgpr_workgroup_id_y 0
		.amdhsa_system_sgpr_workgroup_id_z 0
		.amdhsa_system_sgpr_workgroup_info 0
		.amdhsa_system_vgpr_workitem_id 0
		.amdhsa_next_free_vgpr 31
		.amdhsa_next_free_sgpr 20
		.amdhsa_accum_offset 32
		.amdhsa_reserve_vcc 1
		.amdhsa_float_round_mode_32 0
		.amdhsa_float_round_mode_16_64 0
		.amdhsa_float_denorm_mode_32 3
		.amdhsa_float_denorm_mode_16_64 3
		.amdhsa_dx10_clamp 1
		.amdhsa_ieee_mode 1
		.amdhsa_fp16_overflow 0
		.amdhsa_tg_split 0
		.amdhsa_exception_fp_ieee_invalid_op 0
		.amdhsa_exception_fp_denorm_src 0
		.amdhsa_exception_fp_ieee_div_zero 0
		.amdhsa_exception_fp_ieee_overflow 0
		.amdhsa_exception_fp_ieee_underflow 0
		.amdhsa_exception_fp_ieee_inexact 0
		.amdhsa_exception_int_div_zero 0
	.end_amdhsa_kernel
	.section	.text._ZN4vllm18act_and_mul_kernelIfTnPFT_RKS1_EXadL_ZNS_11silu_kernelIfEES1_S3_EELb0EEEvPS1_PS2_i,"axG",@progbits,_ZN4vllm18act_and_mul_kernelIfTnPFT_RKS1_EXadL_ZNS_11silu_kernelIfEES1_S3_EELb0EEEvPS1_PS2_i,comdat
.Lfunc_end3:
	.size	_ZN4vllm18act_and_mul_kernelIfTnPFT_RKS1_EXadL_ZNS_11silu_kernelIfEES1_S3_EELb0EEEvPS1_PS2_i, .Lfunc_end3-_ZN4vllm18act_and_mul_kernelIfTnPFT_RKS1_EXadL_ZNS_11silu_kernelIfEES1_S3_EELb0EEEvPS1_PS2_i
                                        ; -- End function
	.set _ZN4vllm18act_and_mul_kernelIfTnPFT_RKS1_EXadL_ZNS_11silu_kernelIfEES1_S3_EELb0EEEvPS1_PS2_i.num_vgpr, 31
	.set _ZN4vllm18act_and_mul_kernelIfTnPFT_RKS1_EXadL_ZNS_11silu_kernelIfEES1_S3_EELb0EEEvPS1_PS2_i.num_agpr, 0
	.set _ZN4vllm18act_and_mul_kernelIfTnPFT_RKS1_EXadL_ZNS_11silu_kernelIfEES1_S3_EELb0EEEvPS1_PS2_i.numbered_sgpr, 20
	.set _ZN4vllm18act_and_mul_kernelIfTnPFT_RKS1_EXadL_ZNS_11silu_kernelIfEES1_S3_EELb0EEEvPS1_PS2_i.num_named_barrier, 0
	.set _ZN4vllm18act_and_mul_kernelIfTnPFT_RKS1_EXadL_ZNS_11silu_kernelIfEES1_S3_EELb0EEEvPS1_PS2_i.private_seg_size, 0
	.set _ZN4vllm18act_and_mul_kernelIfTnPFT_RKS1_EXadL_ZNS_11silu_kernelIfEES1_S3_EELb0EEEvPS1_PS2_i.uses_vcc, 1
	.set _ZN4vllm18act_and_mul_kernelIfTnPFT_RKS1_EXadL_ZNS_11silu_kernelIfEES1_S3_EELb0EEEvPS1_PS2_i.uses_flat_scratch, 0
	.set _ZN4vllm18act_and_mul_kernelIfTnPFT_RKS1_EXadL_ZNS_11silu_kernelIfEES1_S3_EELb0EEEvPS1_PS2_i.has_dyn_sized_stack, 0
	.set _ZN4vllm18act_and_mul_kernelIfTnPFT_RKS1_EXadL_ZNS_11silu_kernelIfEES1_S3_EELb0EEEvPS1_PS2_i.has_recursion, 0
	.set _ZN4vllm18act_and_mul_kernelIfTnPFT_RKS1_EXadL_ZNS_11silu_kernelIfEES1_S3_EELb0EEEvPS1_PS2_i.has_indirect_call, 0
	.section	.AMDGPU.csdata,"",@progbits
; Kernel info:
; codeLenInByte = 1068
; TotalNumSgprs: 26
; NumVgprs: 31
; NumAgprs: 0
; TotalNumVgprs: 31
; ScratchSize: 0
; MemoryBound: 0
; FloatMode: 240
; IeeeMode: 1
; LDSByteSize: 0 bytes/workgroup (compile time only)
; SGPRBlocks: 3
; VGPRBlocks: 3
; NumSGPRsForWavesPerEU: 26
; NumVGPRsForWavesPerEU: 31
; AccumOffset: 32
; Occupancy: 8
; WaveLimiterHint : 0
; COMPUTE_PGM_RSRC2:SCRATCH_EN: 0
; COMPUTE_PGM_RSRC2:USER_SGPR: 2
; COMPUTE_PGM_RSRC2:TRAP_HANDLER: 0
; COMPUTE_PGM_RSRC2:TGID_X_EN: 1
; COMPUTE_PGM_RSRC2:TGID_Y_EN: 0
; COMPUTE_PGM_RSRC2:TGID_Z_EN: 0
; COMPUTE_PGM_RSRC2:TIDIG_COMP_CNT: 0
; COMPUTE_PGM_RSRC3_GFX90A:ACCUM_OFFSET: 7
; COMPUTE_PGM_RSRC3_GFX90A:TG_SPLIT: 0
	.section	.text._ZN4vllm18act_and_mul_kernelIN3c104HalfETnPFT_RKS3_EXadL_ZNS_11silu_kernelIS2_EES3_S5_EELb0EEEvPS3_PS4_i,"axG",@progbits,_ZN4vllm18act_and_mul_kernelIN3c104HalfETnPFT_RKS3_EXadL_ZNS_11silu_kernelIS2_EES3_S5_EELb0EEEvPS3_PS4_i,comdat
	.protected	_ZN4vllm18act_and_mul_kernelIN3c104HalfETnPFT_RKS3_EXadL_ZNS_11silu_kernelIS2_EES3_S5_EELb0EEEvPS3_PS4_i ; -- Begin function _ZN4vllm18act_and_mul_kernelIN3c104HalfETnPFT_RKS3_EXadL_ZNS_11silu_kernelIS2_EES3_S5_EELb0EEEvPS3_PS4_i
	.globl	_ZN4vllm18act_and_mul_kernelIN3c104HalfETnPFT_RKS3_EXadL_ZNS_11silu_kernelIS2_EES3_S5_EELb0EEEvPS3_PS4_i
	.p2align	8
	.type	_ZN4vllm18act_and_mul_kernelIN3c104HalfETnPFT_RKS3_EXadL_ZNS_11silu_kernelIS2_EES3_S5_EELb0EEEvPS3_PS4_i,@function
_ZN4vllm18act_and_mul_kernelIN3c104HalfETnPFT_RKS3_EXadL_ZNS_11silu_kernelIS2_EES3_S5_EELb0EEEvPS3_PS4_i: ; @_ZN4vllm18act_and_mul_kernelIN3c104HalfETnPFT_RKS3_EXadL_ZNS_11silu_kernelIS2_EES3_S5_EELb0EEEvPS3_PS4_i
; %bb.0:
	s_load_dword s6, s[0:1], 0x10
	s_waitcnt lgkmcnt(0)
	v_cmp_gt_i32_e32 vcc, s6, v0
	s_and_saveexec_b64 s[4:5], vcc
	s_cbranch_execz .LBB4_8
; %bb.1:
	v_mov_b32_e32 v1, 0
	s_load_dwordx4 s[8:11], s[0:1], 0x0
	s_load_dword s4, s[0:1], 0x24
	s_ashr_i32 s7, s6, 31
	v_add_u32_e32 v2, 1, v0
	v_mov_b32_e32 v3, v1
	v_mov_b32_e32 v4, s7
	v_cmp_lt_i64_e32 vcc, s[6:7], v[2:3]
	s_mul_hi_u32 s3, s2, s6
	s_mul_i32 s0, s2, s7
	v_cndmask_b32_e64 v3, v4, 0, vcc
	v_mov_b32_e32 v4, s6
	s_add_i32 s15, s3, s0
	s_mul_i32 s14, s2, s6
	v_cndmask_b32_e32 v2, v4, v2, vcc
	s_lshl_b64 s[16:17], s[14:15], 2
	s_waitcnt lgkmcnt(0)
	s_and_b32 s12, s4, 0xffff
	v_sub_co_u32_e32 v2, vcc, v2, v0
	s_cmp_eq_u32 s12, 1
	s_nop 0
	v_subbrev_co_u32_e32 v3, vcc, 0, v3, vcc
	v_cmp_lt_u64_e32 vcc, 3, v[2:3]
	s_cselect_b64 s[0:1], -1, 0
	s_and_b64 s[4:5], vcc, s[0:1]
	s_mov_b64 s[0:1], -1
	s_and_saveexec_b64 s[18:19], s[4:5]
	s_cbranch_execz .LBB4_5
; %bb.2:
	s_lshl_b64 s[0:1], s[14:15], 1
	s_add_u32 s0, s8, s0
	s_mov_b32 s3, 0
	v_lshlrev_b64 v[10:11], 1, v[0:1]
	s_addc_u32 s1, s9, s1
	v_lshl_add_u64 v[6:7], s[0:1], 0, v[10:11]
	s_lshl_b64 s[0:1], s[2:3], 2
	s_or_b32 s0, s0, 2
	s_mul_i32 s2, s0, s7
	s_mul_hi_u32 s3, s0, s6
	s_add_i32 s2, s3, s2
	s_mul_i32 s1, s1, s6
	s_add_i32 s2, s2, s1
	s_mul_i32 s0, s0, s6
	s_add_u32 s0, s10, s0
	s_addc_u32 s1, s11, s2
	v_lshl_add_u64 v[8:9], s[0:1], 0, v[10:11]
	s_add_u32 s0, s10, s16
	v_and_b32_e32 v4, -4, v2
	v_mov_b32_e32 v5, v3
	s_addc_u32 s1, s11, s17
	v_lshl_add_u64 v[10:11], s[0:1], 0, v[10:11]
	s_mov_b64 s[20:21], 0
	s_mov_b32 s13, 0x3fb8aa3b
	s_mov_b32 s22, 0x32a5705f
	;; [unrolled: 1-line block ×4, first 2 shown]
	v_mov_b32_e32 v18, 0x7f800000
	v_mov_b64_e32 v[12:13], v[4:5]
.LBB4_3:                                ; =>This Inner Loop Header: Depth=1
	global_load_dwordx2 v[16:17], v[8:9], off
	global_load_dwordx2 v[14:15], v[10:11], off
	v_lshl_add_u64 v[12:13], v[12:13], 0, -4
	v_cmp_eq_u64_e32 vcc, 0, v[12:13]
	s_or_b64 s[20:21], vcc, s[20:21]
	v_lshl_add_u64 v[8:9], v[8:9], 0, 8
	v_lshl_add_u64 v[10:11], v[10:11], 0, 8
	s_waitcnt vmcnt(1)
	v_cvt_f32_f16_e64 v20, -v17
	v_cvt_f32_f16_sdwa v21, -v17 dst_sel:DWORD dst_unused:UNUSED_PAD src0_sel:WORD_1
	v_cvt_f32_f16_e64 v25, -v16
	v_cvt_f32_f16_sdwa v26, -v16 dst_sel:DWORD dst_unused:UNUSED_PAD src0_sel:WORD_1
	v_mul_f32_e32 v27, 0x3fb8aa3b, v20
	v_mul_f32_e32 v28, 0x3fb8aa3b, v21
	;; [unrolled: 1-line block ×4, first 2 shown]
	v_rndne_f32_e32 v31, v27
	v_fma_mix_f32 v32, -v17, s13, -v27 op_sel_hi:[1,0,0]
	v_rndne_f32_e32 v33, v28
	v_fma_mix_f32 v34, -v17, s13, -v28 op_sel:[1,0,0] op_sel_hi:[1,0,0]
	v_cvt_f32_f16_sdwa v22, v17 dst_sel:DWORD dst_unused:UNUSED_PAD src0_sel:WORD_1
	v_cvt_f32_f16_e32 v24, v17
	v_rndne_f32_e32 v35, v29
	v_fma_mix_f32 v36, -v16, s13, -v29 op_sel_hi:[1,0,0]
	v_rndne_f32_e32 v37, v30
	v_fma_mix_f32 v38, -v16, s13, -v30 op_sel:[1,0,0] op_sel_hi:[1,0,0]
	v_sub_f32_e32 v27, v27, v31
	v_fma_mix_f32 v32, -v17, s22, v32 op_sel_hi:[1,0,0]
	v_sub_f32_e32 v28, v28, v33
	v_fma_mix_f32 v17, -v17, s22, v34 op_sel:[1,0,0] op_sel_hi:[1,0,0]
	v_cvt_f32_f16_sdwa v19, v16 dst_sel:DWORD dst_unused:UNUSED_PAD src0_sel:WORD_1
	v_cvt_f32_f16_e32 v23, v16
	v_sub_f32_e32 v29, v29, v35
	v_fma_mix_f32 v34, -v16, s22, v36 op_sel_hi:[1,0,0]
	v_sub_f32_e32 v30, v30, v37
	v_fma_mix_f32 v16, -v16, s22, v38 op_sel:[1,0,0] op_sel_hi:[1,0,0]
	v_add_f32_e32 v27, v27, v32
	v_add_f32_e32 v17, v28, v17
	v_cvt_i32_f32_e32 v31, v31
	v_cvt_i32_f32_e32 v33, v33
	v_add_f32_e32 v28, v29, v34
	v_add_f32_e32 v16, v30, v16
	v_exp_f32_e32 v27, v27
	v_exp_f32_e32 v17, v17
	v_cvt_i32_f32_e32 v35, v35
	v_cvt_i32_f32_e32 v36, v37
	v_exp_f32_e32 v28, v28
	v_exp_f32_e32 v16, v16
	v_ldexp_f32 v27, v27, v31
	v_ldexp_f32 v17, v17, v33
	v_cmp_ngt_f32_e32 vcc, s23, v21
	v_cmp_ngt_f32_e64 s[4:5], s23, v20
	v_ldexp_f32 v28, v28, v35
	v_cmp_ngt_f32_e64 s[0:1], s23, v25
	v_ldexp_f32 v16, v16, v36
	v_cmp_ngt_f32_e64 s[2:3], s23, v26
	v_cndmask_b32_e64 v27, 0, v27, s[4:5]
	v_cndmask_b32_e32 v17, 0, v17, vcc
	v_cmp_nlt_f32_e32 vcc, s24, v21
	v_cmp_nlt_f32_e64 s[4:5], s24, v20
	v_cndmask_b32_e64 v21, 0, v28, s[0:1]
	v_cmp_nlt_f32_e64 s[0:1], s24, v25
	v_cndmask_b32_e64 v25, 0, v16, s[2:3]
	v_cndmask_b32_e64 v16, v18, v27, s[4:5]
	v_cndmask_b32_e32 v17, v18, v17, vcc
	v_cmp_nlt_f32_e64 s[2:3], s24, v26
	v_pk_add_f32 v[16:17], v[16:17], 1.0 op_sel_hi:[1,0]
	v_cndmask_b32_e64 v20, v18, v21, s[0:1]
	v_cndmask_b32_e64 v21, v18, v25, s[2:3]
	v_div_scale_f32 v25, s[0:1], v17, v17, v22
	v_pk_add_f32 v[20:21], v[20:21], 1.0 op_sel_hi:[1,0]
	v_div_scale_f32 v27, s[0:1], v16, v16, v24
	v_rcp_f32_e32 v33, v25
	v_div_scale_f32 v29, s[2:3], v21, v21, v19
	v_rcp_f32_e32 v34, v27
	;; [unrolled: 2-line block ×3, first 2 shown]
	v_rcp_f32_e32 v36, v31
	v_fma_f32 v37, -v25, v33, 1.0
	v_div_scale_f32 v26, vcc, v22, v17, v22
	v_fma_f32 v38, -v27, v34, 1.0
	v_fmac_f32_e32 v33, v37, v33
	v_div_scale_f32 v28, s[0:1], v24, v16, v24
	v_fma_f32 v39, -v29, v35, 1.0
	v_fmac_f32_e32 v34, v38, v34
	v_mul_f32_e32 v37, v26, v33
	v_div_scale_f32 v30, s[2:3], v19, v21, v19
	v_fma_f32 v40, -v31, v36, 1.0
	v_fmac_f32_e32 v35, v39, v35
	v_mul_f32_e32 v38, v28, v34
	v_fma_f32 v41, -v25, v37, v26
	v_div_scale_f32 v32, s[4:5], v23, v20, v23
	v_fmac_f32_e32 v36, v40, v36
	v_mul_f32_e32 v39, v30, v35
	v_fma_f32 v42, -v27, v38, v28
	v_fmac_f32_e32 v37, v41, v33
	v_mul_f32_e32 v40, v32, v36
	v_fma_f32 v43, -v29, v39, v30
	v_fmac_f32_e32 v38, v42, v34
	v_fma_f32 v25, -v25, v37, v26
	v_fma_f32 v44, -v31, v40, v32
	v_fmac_f32_e32 v39, v43, v35
	v_fma_f32 v26, -v27, v38, v28
	v_div_fmas_f32 v25, v25, v33, v37
	s_mov_b64 vcc, s[0:1]
	v_fmac_f32_e32 v40, v44, v36
	v_fma_f32 v27, -v29, v39, v30
	v_div_fixup_f32 v17, v25, v17, v22
	v_div_fmas_f32 v22, v26, v34, v38
	s_mov_b64 vcc, s[2:3]
	v_fma_f32 v28, -v31, v40, v32
	v_div_fixup_f32 v16, v22, v16, v24
	v_div_fmas_f32 v22, v27, v35, v39
	s_mov_b64 vcc, s[4:5]
	v_div_fixup_f32 v19, v22, v21, v19
	v_div_fmas_f32 v21, v28, v36, v40
	v_cvt_pk_f16_f32 v16, v16, v17
	v_div_fixup_f32 v17, v21, v20, v23
	s_waitcnt vmcnt(0)
	v_pk_mul_f16 v15, v15, v16
	v_cvt_pk_f16_f32 v16, v17, v19
	v_pk_mul_f16 v14, v14, v16
	global_store_dwordx2 v[6:7], v[14:15], off
	v_lshl_add_u64 v[6:7], v[6:7], 0, 8
	s_andn2_b64 exec, exec, s[20:21]
	s_cbranch_execnz .LBB4_3
; %bb.4:
	s_or_b64 exec, exec, s[20:21]
	v_cmp_ne_u64_e32 vcc, v[2:3], v[4:5]
	v_lshl_add_u64 v[0:1], v[4:5], 0, v[0:1]
	s_orn2_b64 s[0:1], vcc, exec
.LBB4_5:
	s_or_b64 exec, exec, s[18:19]
	s_and_b64 exec, exec, s[0:1]
	s_cbranch_execz .LBB4_8
; %bb.6:
	s_add_u32 s0, s10, s16
	s_addc_u32 s1, s11, s17
	s_lshl_b64 s[2:3], s[6:7], 1
	s_add_u32 s2, s0, s2
	s_addc_u32 s3, s1, s3
	s_lshl_b64 s[4:5], s[14:15], 1
	s_add_u32 s4, s8, s4
	s_mov_b32 s13, 0
	s_addc_u32 s5, s9, s5
	v_lshlrev_b64 v[2:3], 1, v[0:1]
	s_lshl_b32 s8, s12, 1
	s_mov_b32 s9, s13
	s_mov_b64 s[10:11], 0
	s_mov_b32 s14, 0x3fb8aa3b
	s_mov_b32 s15, 0x32a5705f
	;; [unrolled: 1-line block ×4, first 2 shown]
	v_mov_b32_e32 v4, 0x7f800000
.LBB4_7:                                ; =>This Inner Loop Header: Depth=1
	v_lshl_add_u64 v[8:9], s[2:3], 0, v[2:3]
	v_lshl_add_u64 v[6:7], s[0:1], 0, v[2:3]
	global_load_ushort v5, v[8:9], off
	global_load_ushort v10, v[6:7], off
	v_lshl_add_u64 v[0:1], v[0:1], 0, s[12:13]
	v_lshl_add_u64 v[6:7], s[4:5], 0, v[2:3]
	;; [unrolled: 1-line block ×3, first 2 shown]
	s_waitcnt vmcnt(1)
	v_cvt_f32_f16_e64 v8, -v5
	v_cvt_f32_f16_e32 v9, v5
	v_mul_f32_e32 v11, 0x3fb8aa3b, v8
	v_fma_mix_f32 v12, -v5, s14, -v11 op_sel_hi:[1,0,0]
	v_rndne_f32_e32 v13, v11
	v_fma_mix_f32 v5, -v5, s15, v12 op_sel_hi:[1,0,0]
	v_sub_f32_e32 v11, v11, v13
	v_add_f32_e32 v5, v11, v5
	v_cvt_i32_f32_e32 v12, v13
	v_exp_f32_e32 v5, v5
	v_cmp_ngt_f32_e32 vcc, s16, v8
	v_ldexp_f32 v5, v5, v12
	s_nop 0
	v_cndmask_b32_e32 v5, 0, v5, vcc
	v_cmp_nlt_f32_e32 vcc, s17, v8
	s_nop 1
	v_cndmask_b32_e32 v5, v4, v5, vcc
	v_add_f32_e32 v5, 1.0, v5
	v_div_scale_f32 v8, s[18:19], v5, v5, v9
	v_rcp_f32_e32 v11, v8
	v_div_scale_f32 v12, vcc, v9, v5, v9
	v_fma_f32 v13, -v8, v11, 1.0
	v_fmac_f32_e32 v11, v13, v11
	v_mul_f32_e32 v13, v12, v11
	v_fma_f32 v14, -v8, v13, v12
	v_fmac_f32_e32 v13, v14, v11
	v_fma_f32 v8, -v8, v13, v12
	v_div_fmas_f32 v8, v8, v11, v13
	v_div_fixup_f32 v5, v8, v5, v9
	v_cvt_f16_f32_e32 v5, v5
	v_cmp_le_i64_e32 vcc, s[6:7], v[0:1]
	s_or_b64 s[10:11], vcc, s[10:11]
	s_waitcnt vmcnt(0)
	v_mul_f16_e32 v5, v10, v5
	global_store_short v[6:7], v5, off
	s_andn2_b64 exec, exec, s[10:11]
	s_cbranch_execnz .LBB4_7
.LBB4_8:
	s_endpgm
	.section	.rodata,"a",@progbits
	.p2align	6, 0x0
	.amdhsa_kernel _ZN4vllm18act_and_mul_kernelIN3c104HalfETnPFT_RKS3_EXadL_ZNS_11silu_kernelIS2_EES3_S5_EELb0EEEvPS3_PS4_i
		.amdhsa_group_segment_fixed_size 0
		.amdhsa_private_segment_fixed_size 0
		.amdhsa_kernarg_size 280
		.amdhsa_user_sgpr_count 2
		.amdhsa_user_sgpr_dispatch_ptr 0
		.amdhsa_user_sgpr_queue_ptr 0
		.amdhsa_user_sgpr_kernarg_segment_ptr 1
		.amdhsa_user_sgpr_dispatch_id 0
		.amdhsa_user_sgpr_kernarg_preload_length 0
		.amdhsa_user_sgpr_kernarg_preload_offset 0
		.amdhsa_user_sgpr_private_segment_size 0
		.amdhsa_uses_dynamic_stack 0
		.amdhsa_enable_private_segment 0
		.amdhsa_system_sgpr_workgroup_id_x 1
		.amdhsa_system_sgpr_workgroup_id_y 0
		.amdhsa_system_sgpr_workgroup_id_z 0
		.amdhsa_system_sgpr_workgroup_info 0
		.amdhsa_system_vgpr_workitem_id 0
		.amdhsa_next_free_vgpr 45
		.amdhsa_next_free_sgpr 25
		.amdhsa_accum_offset 48
		.amdhsa_reserve_vcc 1
		.amdhsa_float_round_mode_32 0
		.amdhsa_float_round_mode_16_64 0
		.amdhsa_float_denorm_mode_32 3
		.amdhsa_float_denorm_mode_16_64 3
		.amdhsa_dx10_clamp 1
		.amdhsa_ieee_mode 1
		.amdhsa_fp16_overflow 0
		.amdhsa_tg_split 0
		.amdhsa_exception_fp_ieee_invalid_op 0
		.amdhsa_exception_fp_denorm_src 0
		.amdhsa_exception_fp_ieee_div_zero 0
		.amdhsa_exception_fp_ieee_overflow 0
		.amdhsa_exception_fp_ieee_underflow 0
		.amdhsa_exception_fp_ieee_inexact 0
		.amdhsa_exception_int_div_zero 0
	.end_amdhsa_kernel
	.section	.text._ZN4vllm18act_and_mul_kernelIN3c104HalfETnPFT_RKS3_EXadL_ZNS_11silu_kernelIS2_EES3_S5_EELb0EEEvPS3_PS4_i,"axG",@progbits,_ZN4vllm18act_and_mul_kernelIN3c104HalfETnPFT_RKS3_EXadL_ZNS_11silu_kernelIS2_EES3_S5_EELb0EEEvPS3_PS4_i,comdat
.Lfunc_end4:
	.size	_ZN4vllm18act_and_mul_kernelIN3c104HalfETnPFT_RKS3_EXadL_ZNS_11silu_kernelIS2_EES3_S5_EELb0EEEvPS3_PS4_i, .Lfunc_end4-_ZN4vllm18act_and_mul_kernelIN3c104HalfETnPFT_RKS3_EXadL_ZNS_11silu_kernelIS2_EES3_S5_EELb0EEEvPS3_PS4_i
                                        ; -- End function
	.set _ZN4vllm18act_and_mul_kernelIN3c104HalfETnPFT_RKS3_EXadL_ZNS_11silu_kernelIS2_EES3_S5_EELb0EEEvPS3_PS4_i.num_vgpr, 45
	.set _ZN4vllm18act_and_mul_kernelIN3c104HalfETnPFT_RKS3_EXadL_ZNS_11silu_kernelIS2_EES3_S5_EELb0EEEvPS3_PS4_i.num_agpr, 0
	.set _ZN4vllm18act_and_mul_kernelIN3c104HalfETnPFT_RKS3_EXadL_ZNS_11silu_kernelIS2_EES3_S5_EELb0EEEvPS3_PS4_i.numbered_sgpr, 25
	.set _ZN4vllm18act_and_mul_kernelIN3c104HalfETnPFT_RKS3_EXadL_ZNS_11silu_kernelIS2_EES3_S5_EELb0EEEvPS3_PS4_i.num_named_barrier, 0
	.set _ZN4vllm18act_and_mul_kernelIN3c104HalfETnPFT_RKS3_EXadL_ZNS_11silu_kernelIS2_EES3_S5_EELb0EEEvPS3_PS4_i.private_seg_size, 0
	.set _ZN4vllm18act_and_mul_kernelIN3c104HalfETnPFT_RKS3_EXadL_ZNS_11silu_kernelIS2_EES3_S5_EELb0EEEvPS3_PS4_i.uses_vcc, 1
	.set _ZN4vllm18act_and_mul_kernelIN3c104HalfETnPFT_RKS3_EXadL_ZNS_11silu_kernelIS2_EES3_S5_EELb0EEEvPS3_PS4_i.uses_flat_scratch, 0
	.set _ZN4vllm18act_and_mul_kernelIN3c104HalfETnPFT_RKS3_EXadL_ZNS_11silu_kernelIS2_EES3_S5_EELb0EEEvPS3_PS4_i.has_dyn_sized_stack, 0
	.set _ZN4vllm18act_and_mul_kernelIN3c104HalfETnPFT_RKS3_EXadL_ZNS_11silu_kernelIS2_EES3_S5_EELb0EEEvPS3_PS4_i.has_recursion, 0
	.set _ZN4vllm18act_and_mul_kernelIN3c104HalfETnPFT_RKS3_EXadL_ZNS_11silu_kernelIS2_EES3_S5_EELb0EEEvPS3_PS4_i.has_indirect_call, 0
	.section	.AMDGPU.csdata,"",@progbits
; Kernel info:
; codeLenInByte = 1500
; TotalNumSgprs: 31
; NumVgprs: 45
; NumAgprs: 0
; TotalNumVgprs: 45
; ScratchSize: 0
; MemoryBound: 0
; FloatMode: 240
; IeeeMode: 1
; LDSByteSize: 0 bytes/workgroup (compile time only)
; SGPRBlocks: 3
; VGPRBlocks: 5
; NumSGPRsForWavesPerEU: 31
; NumVGPRsForWavesPerEU: 45
; AccumOffset: 48
; Occupancy: 8
; WaveLimiterHint : 0
; COMPUTE_PGM_RSRC2:SCRATCH_EN: 0
; COMPUTE_PGM_RSRC2:USER_SGPR: 2
; COMPUTE_PGM_RSRC2:TRAP_HANDLER: 0
; COMPUTE_PGM_RSRC2:TGID_X_EN: 1
; COMPUTE_PGM_RSRC2:TGID_Y_EN: 0
; COMPUTE_PGM_RSRC2:TGID_Z_EN: 0
; COMPUTE_PGM_RSRC2:TIDIG_COMP_CNT: 0
; COMPUTE_PGM_RSRC3_GFX90A:ACCUM_OFFSET: 11
; COMPUTE_PGM_RSRC3_GFX90A:TG_SPLIT: 0
	.section	.text._ZN4vllm18act_and_mul_kernelIN3c108BFloat16ETnPFT_RKS3_EXadL_ZNS_11silu_kernelIS2_EES3_S5_EELb0EEEvPS3_PS4_i,"axG",@progbits,_ZN4vllm18act_and_mul_kernelIN3c108BFloat16ETnPFT_RKS3_EXadL_ZNS_11silu_kernelIS2_EES3_S5_EELb0EEEvPS3_PS4_i,comdat
	.protected	_ZN4vllm18act_and_mul_kernelIN3c108BFloat16ETnPFT_RKS3_EXadL_ZNS_11silu_kernelIS2_EES3_S5_EELb0EEEvPS3_PS4_i ; -- Begin function _ZN4vllm18act_and_mul_kernelIN3c108BFloat16ETnPFT_RKS3_EXadL_ZNS_11silu_kernelIS2_EES3_S5_EELb0EEEvPS3_PS4_i
	.globl	_ZN4vllm18act_and_mul_kernelIN3c108BFloat16ETnPFT_RKS3_EXadL_ZNS_11silu_kernelIS2_EES3_S5_EELb0EEEvPS3_PS4_i
	.p2align	8
	.type	_ZN4vllm18act_and_mul_kernelIN3c108BFloat16ETnPFT_RKS3_EXadL_ZNS_11silu_kernelIS2_EES3_S5_EELb0EEEvPS3_PS4_i,@function
_ZN4vllm18act_and_mul_kernelIN3c108BFloat16ETnPFT_RKS3_EXadL_ZNS_11silu_kernelIS2_EES3_S5_EELb0EEEvPS3_PS4_i: ; @_ZN4vllm18act_and_mul_kernelIN3c108BFloat16ETnPFT_RKS3_EXadL_ZNS_11silu_kernelIS2_EES3_S5_EELb0EEEvPS3_PS4_i
; %bb.0:
	s_load_dword s6, s[0:1], 0x10
	s_waitcnt lgkmcnt(0)
	v_cmp_gt_i32_e32 vcc, s6, v0
	s_and_saveexec_b64 s[4:5], vcc
	s_cbranch_execz .LBB5_8
; %bb.1:
	v_mov_b32_e32 v1, 0
	s_load_dwordx4 s[8:11], s[0:1], 0x0
	s_load_dword s4, s[0:1], 0x24
	s_ashr_i32 s7, s6, 31
	v_add_u32_e32 v2, 1, v0
	v_mov_b32_e32 v3, v1
	v_mov_b32_e32 v4, s7
	v_cmp_lt_i64_e32 vcc, s[6:7], v[2:3]
	s_mul_hi_u32 s3, s2, s6
	s_mul_i32 s0, s2, s7
	v_cndmask_b32_e64 v3, v4, 0, vcc
	v_mov_b32_e32 v4, s6
	s_add_i32 s15, s3, s0
	s_mul_i32 s14, s2, s6
	v_cndmask_b32_e32 v2, v4, v2, vcc
	s_lshl_b64 s[16:17], s[14:15], 2
	s_waitcnt lgkmcnt(0)
	s_and_b32 s12, s4, 0xffff
	v_sub_co_u32_e32 v2, vcc, v2, v0
	s_cmp_eq_u32 s12, 1
	s_nop 0
	v_subbrev_co_u32_e32 v3, vcc, 0, v3, vcc
	v_cmp_lt_u64_e32 vcc, 3, v[2:3]
	s_cselect_b64 s[0:1], -1, 0
	s_and_b64 s[4:5], vcc, s[0:1]
	s_mov_b64 s[0:1], -1
	s_and_saveexec_b64 s[18:19], s[4:5]
	s_cbranch_execz .LBB5_5
; %bb.2:
	s_lshl_b64 s[0:1], s[14:15], 1
	s_add_u32 s0, s8, s0
	s_mov_b32 s3, 0
	v_lshlrev_b64 v[10:11], 1, v[0:1]
	s_addc_u32 s1, s9, s1
	v_lshl_add_u64 v[6:7], s[0:1], 0, v[10:11]
	s_lshl_b64 s[0:1], s[2:3], 2
	s_or_b32 s0, s0, 2
	s_mul_i32 s2, s0, s7
	s_mul_hi_u32 s3, s0, s6
	s_add_i32 s2, s3, s2
	s_mul_i32 s1, s1, s6
	s_add_i32 s2, s2, s1
	s_mul_i32 s0, s0, s6
	s_add_u32 s0, s10, s0
	s_addc_u32 s1, s11, s2
	v_lshl_add_u64 v[8:9], s[0:1], 0, v[10:11]
	s_add_u32 s0, s10, s16
	v_and_b32_e32 v4, -4, v2
	v_mov_b32_e32 v5, v3
	s_addc_u32 s1, s11, s17
	v_lshl_add_u64 v[10:11], s[0:1], 0, v[10:11]
	s_mov_b64 s[20:21], 0
	s_movk_i32 s13, 0x7fff
	v_mov_b32_e32 v20, 0x7fc00000
	s_mov_b32 s22, 0x3fb8aa3b
	s_mov_b32 s23, 0xc2ce8ed0
	;; [unrolled: 1-line block ×3, first 2 shown]
	v_mov_b32_e32 v21, 0x7f800000
	v_mov_b32_e32 v22, 0x7fc0
	s_mov_b32 s25, 0x5040100
	v_mov_b64_e32 v[12:13], v[4:5]
.LBB5_3:                                ; =>This Inner Loop Header: Depth=1
	global_load_dwordx2 v[16:17], v[8:9], off
	global_load_dwordx2 v[14:15], v[10:11], off
	v_lshl_add_u64 v[12:13], v[12:13], 0, -4
	v_cmp_eq_u64_e32 vcc, 0, v[12:13]
	s_or_b64 s[20:21], vcc, s[20:21]
	v_lshl_add_u64 v[8:9], v[8:9], 0, 8
	v_lshl_add_u64 v[10:11], v[10:11], 0, 8
	s_waitcnt vmcnt(1)
	v_and_b32_e32 v23, 0xffff0000, v17
	v_lshlrev_b32_e32 v27, 16, v17
	v_and_b32_e32 v26, 0xffff0000, v16
	v_lshlrev_b32_e32 v28, 16, v16
	v_xor_b32_e32 v24, 0x80000000, v27
	v_xor_b32_e32 v25, 0x80000000, v23
	s_waitcnt vmcnt(0)
	v_and_b32_e32 v19, 0xffff0000, v15
	v_and_b32_e32 v17, 0xffff0000, v14
	v_lshlrev_b32_e32 v18, 16, v15
	v_lshlrev_b32_e32 v16, 16, v14
	v_xor_b32_e32 v14, 0x80000000, v28
	v_xor_b32_e32 v15, 0x80000000, v26
	v_bfe_u32 v29, v25, 16, 1
	v_bfe_u32 v30, v24, 16, 1
	;; [unrolled: 1-line block ×4, first 2 shown]
	v_add3_u32 v24, v24, v30, s13
	v_add3_u32 v25, v25, v29, s13
	;; [unrolled: 1-line block ×4, first 2 shown]
	v_and_b32_e32 v25, 0xffff0000, v25
	v_and_b32_e32 v24, 0xffff0000, v24
	v_cmp_o_f32_e64 s[0:1], v27, v27
	v_cmp_o_f32_e64 s[2:3], v23, v23
	v_and_b32_e32 v15, 0xffff0000, v15
	v_and_b32_e32 v14, 0xffff0000, v14
	v_cmp_o_f32_e32 vcc, v26, v26
	v_cmp_o_f32_e64 s[4:5], v28, v28
	v_cndmask_b32_e64 v24, v20, v24, s[0:1]
	v_cndmask_b32_e64 v25, v20, v25, s[2:3]
	v_cndmask_b32_e64 v14, v20, v14, s[4:5]
	v_cndmask_b32_e32 v15, v20, v15, vcc
	v_mul_f32_e32 v29, 0x3fb8aa3b, v25
	v_mul_f32_e32 v30, 0x3fb8aa3b, v24
	;; [unrolled: 1-line block ×4, first 2 shown]
	v_fma_f32 v33, v25, s22, -v29
	v_rndne_f32_e32 v34, v29
	v_fma_f32 v35, v24, s22, -v30
	v_rndne_f32_e32 v36, v30
	;; [unrolled: 2-line block ×4, first 2 shown]
	v_fmac_f32_e32 v33, 0x32a5705f, v25
	v_sub_f32_e32 v29, v29, v34
	v_fmac_f32_e32 v35, 0x32a5705f, v24
	v_sub_f32_e32 v30, v30, v36
	;; [unrolled: 2-line block ×4, first 2 shown]
	v_add_f32_e32 v29, v29, v33
	v_add_f32_e32 v30, v30, v35
	v_cvt_i32_f32_e32 v34, v34
	v_cvt_i32_f32_e32 v36, v36
	v_add_f32_e32 v31, v31, v37
	v_add_f32_e32 v32, v32, v39
	v_exp_f32_e32 v29, v29
	v_exp_f32_e32 v30, v30
	v_cvt_i32_f32_e32 v38, v38
	v_cvt_i32_f32_e32 v40, v40
	v_exp_f32_e32 v31, v31
	v_exp_f32_e32 v32, v32
	v_ldexp_f32 v29, v29, v34
	v_ldexp_f32 v30, v30, v36
	v_cmp_ngt_f32_e32 vcc, s23, v24
	v_cmp_ngt_f32_e64 s[4:5], s23, v25
	v_ldexp_f32 v31, v31, v38
	v_cmp_ngt_f32_e64 s[0:1], s23, v15
	v_ldexp_f32 v32, v32, v40
	v_cmp_ngt_f32_e64 s[2:3], s23, v14
	v_cndmask_b32_e64 v29, 0, v29, s[4:5]
	v_cndmask_b32_e32 v30, 0, v30, vcc
	v_cmp_nlt_f32_e32 vcc, s24, v24
	v_cmp_nlt_f32_e64 s[4:5], s24, v25
	v_cndmask_b32_e64 v24, 0, v31, s[0:1]
	v_cmp_nlt_f32_e64 s[0:1], s24, v15
	v_cndmask_b32_e64 v31, 0, v32, s[2:3]
	;; [unrolled: 2-line block ×3, first 2 shown]
	v_cndmask_b32_e32 v14, v21, v30, vcc
	v_pk_add_f32 v[14:15], v[14:15], 1.0 op_sel_hi:[1,0]
	v_cndmask_b32_e64 v25, v21, v24, s[0:1]
	v_cndmask_b32_e64 v24, v21, v31, s[2:3]
	v_div_scale_f32 v29, s[0:1], v15, v15, v23
	v_pk_add_f32 v[24:25], v[24:25], 1.0 op_sel_hi:[1,0]
	v_div_scale_f32 v31, s[0:1], v14, v14, v27
	v_rcp_f32_e32 v37, v29
	v_div_scale_f32 v33, s[2:3], v25, v25, v26
	v_rcp_f32_e32 v38, v31
	;; [unrolled: 2-line block ×3, first 2 shown]
	v_rcp_f32_e32 v40, v35
	v_fma_f32 v41, -v29, v37, 1.0
	v_div_scale_f32 v30, vcc, v23, v15, v23
	v_fma_f32 v42, -v31, v38, 1.0
	v_fmac_f32_e32 v37, v41, v37
	v_div_scale_f32 v32, s[0:1], v27, v14, v27
	v_fma_f32 v43, -v33, v39, 1.0
	v_fmac_f32_e32 v38, v42, v38
	v_mul_f32_e32 v41, v30, v37
	v_div_scale_f32 v34, s[2:3], v26, v25, v26
	v_fma_f32 v44, -v35, v40, 1.0
	v_fmac_f32_e32 v39, v43, v39
	v_mul_f32_e32 v42, v32, v38
	v_fma_f32 v45, -v29, v41, v30
	v_div_scale_f32 v36, s[4:5], v28, v24, v28
	v_fmac_f32_e32 v40, v44, v40
	v_mul_f32_e32 v43, v34, v39
	v_fma_f32 v46, -v31, v42, v32
	v_fmac_f32_e32 v41, v45, v37
	v_mul_f32_e32 v44, v36, v40
	v_fma_f32 v47, -v33, v43, v34
	v_fmac_f32_e32 v42, v46, v38
	v_fma_f32 v29, -v29, v41, v30
	v_fma_f32 v48, -v35, v44, v36
	v_fmac_f32_e32 v43, v47, v39
	v_fma_f32 v30, -v31, v42, v32
	v_div_fmas_f32 v29, v29, v37, v41
	s_mov_b64 vcc, s[0:1]
	v_fmac_f32_e32 v44, v48, v40
	v_fma_f32 v31, -v33, v43, v34
	v_div_fixup_f32 v15, v29, v15, v23
	v_div_fmas_f32 v23, v30, v38, v42
	s_mov_b64 vcc, s[2:3]
	v_fma_f32 v32, -v35, v44, v36
	v_div_fixup_f32 v14, v23, v14, v27
	v_div_fmas_f32 v23, v31, v39, v43
	v_bfe_u32 v27, v15, 16, 1
	s_mov_b64 vcc, s[4:5]
	v_div_fixup_f32 v23, v23, v25, v26
	v_div_fmas_f32 v25, v32, v40, v44
	v_bfe_u32 v26, v14, 16, 1
	v_add3_u32 v27, v15, v27, s13
	v_div_fixup_f32 v24, v25, v24, v28
	v_bfe_u32 v25, v23, 16, 1
	v_add3_u32 v26, v14, v26, s13
	v_and_b32_e32 v27, 0xffff0000, v27
	v_cmp_o_f32_e32 vcc, v15, v15
	v_bfe_u32 v28, v24, 16, 1
	v_add3_u32 v25, v23, v25, s13
	v_and_b32_e32 v26, 0xffff0000, v26
	v_cndmask_b32_e32 v15, v20, v27, vcc
	v_cmp_o_f32_e32 vcc, v14, v14
	v_add3_u32 v27, v24, v28, s13
	v_and_b32_e32 v25, 0xffff0000, v25
	v_cndmask_b32_e32 v14, v20, v26, vcc
	v_cmp_o_f32_e32 vcc, v23, v23
	v_and_b32_e32 v23, 0xffff0000, v27
	v_pk_mul_f32 v[14:15], v[14:15], v[18:19]
	v_cndmask_b32_e32 v25, v20, v25, vcc
	v_cmp_o_f32_e32 vcc, v24, v24
	v_bfe_u32 v18, v14, 16, 1
	v_bfe_u32 v19, v15, 16, 1
	v_cndmask_b32_e32 v24, v20, v23, vcc
	v_pk_mul_f32 v[16:17], v[24:25], v[16:17]
	v_add3_u32 v19, v15, v19, s13
	v_add3_u32 v18, v14, v18, s13
	v_bfe_u32 v23, v16, 16, 1
	v_bfe_u32 v24, v17, 16, 1
	v_lshrrev_b32_e32 v18, 16, v18
	v_lshrrev_b32_e32 v19, 16, v19
	v_cmp_o_f32_e32 vcc, v14, v14
	v_cmp_o_f32_e64 s[0:1], v15, v15
	v_add3_u32 v14, v17, v24, s13
	v_add3_u32 v15, v16, v23, s13
	v_cndmask_b32_e32 v18, v22, v18, vcc
	v_cndmask_b32_e64 v19, v22, v19, s[0:1]
	v_lshrrev_b32_e32 v23, 16, v15
	v_lshrrev_b32_e32 v14, 16, v14
	v_cmp_o_f32_e32 vcc, v17, v17
	v_cmp_o_f32_e64 s[0:1], v16, v16
	v_perm_b32 v15, v19, v18, s25
	v_cndmask_b32_e32 v14, v22, v14, vcc
	v_cndmask_b32_e64 v16, v22, v23, s[0:1]
	v_perm_b32 v14, v14, v16, s25
	global_store_dwordx2 v[6:7], v[14:15], off
	v_lshl_add_u64 v[6:7], v[6:7], 0, 8
	s_andn2_b64 exec, exec, s[20:21]
	s_cbranch_execnz .LBB5_3
; %bb.4:
	s_or_b64 exec, exec, s[20:21]
	v_cmp_ne_u64_e32 vcc, v[2:3], v[4:5]
	v_lshl_add_u64 v[0:1], v[4:5], 0, v[0:1]
	s_orn2_b64 s[0:1], vcc, exec
.LBB5_5:
	s_or_b64 exec, exec, s[18:19]
	s_and_b64 exec, exec, s[0:1]
	s_cbranch_execz .LBB5_8
; %bb.6:
	s_add_u32 s0, s10, s16
	s_addc_u32 s1, s11, s17
	s_lshl_b64 s[2:3], s[6:7], 1
	s_add_u32 s2, s0, s2
	s_addc_u32 s3, s1, s3
	s_lshl_b64 s[4:5], s[14:15], 1
	s_add_u32 s4, s8, s4
	s_mov_b32 s13, 0
	s_addc_u32 s5, s9, s5
	v_lshlrev_b64 v[2:3], 1, v[0:1]
	s_lshl_b32 s8, s12, 1
	s_mov_b32 s9, s13
	s_mov_b64 s[10:11], 0
	s_movk_i32 s14, 0x7fff
	v_mov_b32_e32 v4, 0x7fc00000
	s_mov_b32 s15, 0x3fb8aa3b
	s_mov_b32 s16, 0xc2ce8ed0
	s_mov_b32 s17, 0x42b17218
	v_mov_b32_e32 v5, 0x7f800000
	v_mov_b32_e32 v6, 0x7fc0
.LBB5_7:                                ; =>This Inner Loop Header: Depth=1
	v_lshl_add_u64 v[10:11], s[2:3], 0, v[2:3]
	v_lshl_add_u64 v[8:9], s[0:1], 0, v[2:3]
	global_load_ushort v7, v[10:11], off
	global_load_ushort v12, v[8:9], off
	v_lshl_add_u64 v[0:1], v[0:1], 0, s[12:13]
	v_cmp_le_i64_e32 vcc, s[6:7], v[0:1]
	s_or_b64 s[10:11], vcc, s[10:11]
	v_lshl_add_u64 v[8:9], s[4:5], 0, v[2:3]
	v_lshl_add_u64 v[2:3], v[2:3], 0, s[8:9]
	s_waitcnt vmcnt(1)
	v_lshlrev_b32_e32 v7, 16, v7
	v_xor_b32_e32 v11, 0x80000000, v7
	s_waitcnt vmcnt(0)
	v_lshlrev_b32_e32 v10, 16, v12
	v_bfe_u32 v12, v11, 16, 1
	v_add3_u32 v11, v11, v12, s14
	v_and_b32_e32 v11, 0xffff0000, v11
	v_cmp_o_f32_e32 vcc, v7, v7
	s_nop 1
	v_cndmask_b32_e32 v11, v4, v11, vcc
	v_mul_f32_e32 v12, 0x3fb8aa3b, v11
	v_fma_f32 v13, v11, s15, -v12
	v_rndne_f32_e32 v14, v12
	v_fmac_f32_e32 v13, 0x32a5705f, v11
	v_sub_f32_e32 v12, v12, v14
	v_add_f32_e32 v12, v12, v13
	v_cvt_i32_f32_e32 v14, v14
	v_exp_f32_e32 v12, v12
	v_cmp_ngt_f32_e32 vcc, s16, v11
	v_ldexp_f32 v12, v12, v14
	s_nop 0
	v_cndmask_b32_e32 v12, 0, v12, vcc
	v_cmp_nlt_f32_e32 vcc, s17, v11
	s_nop 1
	v_cndmask_b32_e32 v11, v5, v12, vcc
	v_add_f32_e32 v11, 1.0, v11
	v_div_scale_f32 v12, s[18:19], v11, v11, v7
	v_rcp_f32_e32 v14, v12
	v_div_scale_f32 v13, vcc, v7, v11, v7
	v_fma_f32 v15, -v12, v14, 1.0
	v_fmac_f32_e32 v14, v15, v14
	v_mul_f32_e32 v15, v13, v14
	v_fma_f32 v16, -v12, v15, v13
	v_fmac_f32_e32 v15, v16, v14
	v_fma_f32 v12, -v12, v15, v13
	v_div_fmas_f32 v12, v12, v14, v15
	v_div_fixup_f32 v7, v12, v11, v7
	v_bfe_u32 v11, v7, 16, 1
	v_add3_u32 v11, v7, v11, s14
	v_and_b32_e32 v11, 0xffff0000, v11
	v_cmp_o_f32_e32 vcc, v7, v7
	s_nop 1
	v_cndmask_b32_e32 v7, v4, v11, vcc
	v_mul_f32_e32 v7, v7, v10
	v_bfe_u32 v10, v7, 16, 1
	v_cmp_o_f32_e32 vcc, v7, v7
	v_add3_u32 v7, v7, v10, s14
	s_nop 0
	v_cndmask_b32_sdwa v7, v6, v7, vcc dst_sel:DWORD dst_unused:UNUSED_PAD src0_sel:DWORD src1_sel:WORD_1
	global_store_short v[8:9], v7, off
	s_andn2_b64 exec, exec, s[10:11]
	s_cbranch_execnz .LBB5_7
.LBB5_8:
	s_endpgm
	.section	.rodata,"a",@progbits
	.p2align	6, 0x0
	.amdhsa_kernel _ZN4vllm18act_and_mul_kernelIN3c108BFloat16ETnPFT_RKS3_EXadL_ZNS_11silu_kernelIS2_EES3_S5_EELb0EEEvPS3_PS4_i
		.amdhsa_group_segment_fixed_size 0
		.amdhsa_private_segment_fixed_size 0
		.amdhsa_kernarg_size 280
		.amdhsa_user_sgpr_count 2
		.amdhsa_user_sgpr_dispatch_ptr 0
		.amdhsa_user_sgpr_queue_ptr 0
		.amdhsa_user_sgpr_kernarg_segment_ptr 1
		.amdhsa_user_sgpr_dispatch_id 0
		.amdhsa_user_sgpr_kernarg_preload_length 0
		.amdhsa_user_sgpr_kernarg_preload_offset 0
		.amdhsa_user_sgpr_private_segment_size 0
		.amdhsa_uses_dynamic_stack 0
		.amdhsa_enable_private_segment 0
		.amdhsa_system_sgpr_workgroup_id_x 1
		.amdhsa_system_sgpr_workgroup_id_y 0
		.amdhsa_system_sgpr_workgroup_id_z 0
		.amdhsa_system_sgpr_workgroup_info 0
		.amdhsa_system_vgpr_workitem_id 0
		.amdhsa_next_free_vgpr 49
		.amdhsa_next_free_sgpr 26
		.amdhsa_accum_offset 52
		.amdhsa_reserve_vcc 1
		.amdhsa_float_round_mode_32 0
		.amdhsa_float_round_mode_16_64 0
		.amdhsa_float_denorm_mode_32 3
		.amdhsa_float_denorm_mode_16_64 3
		.amdhsa_dx10_clamp 1
		.amdhsa_ieee_mode 1
		.amdhsa_fp16_overflow 0
		.amdhsa_tg_split 0
		.amdhsa_exception_fp_ieee_invalid_op 0
		.amdhsa_exception_fp_denorm_src 0
		.amdhsa_exception_fp_ieee_div_zero 0
		.amdhsa_exception_fp_ieee_overflow 0
		.amdhsa_exception_fp_ieee_underflow 0
		.amdhsa_exception_fp_ieee_inexact 0
		.amdhsa_exception_int_div_zero 0
	.end_amdhsa_kernel
	.section	.text._ZN4vllm18act_and_mul_kernelIN3c108BFloat16ETnPFT_RKS3_EXadL_ZNS_11silu_kernelIS2_EES3_S5_EELb0EEEvPS3_PS4_i,"axG",@progbits,_ZN4vllm18act_and_mul_kernelIN3c108BFloat16ETnPFT_RKS3_EXadL_ZNS_11silu_kernelIS2_EES3_S5_EELb0EEEvPS3_PS4_i,comdat
.Lfunc_end5:
	.size	_ZN4vllm18act_and_mul_kernelIN3c108BFloat16ETnPFT_RKS3_EXadL_ZNS_11silu_kernelIS2_EES3_S5_EELb0EEEvPS3_PS4_i, .Lfunc_end5-_ZN4vllm18act_and_mul_kernelIN3c108BFloat16ETnPFT_RKS3_EXadL_ZNS_11silu_kernelIS2_EES3_S5_EELb0EEEvPS3_PS4_i
                                        ; -- End function
	.set _ZN4vllm18act_and_mul_kernelIN3c108BFloat16ETnPFT_RKS3_EXadL_ZNS_11silu_kernelIS2_EES3_S5_EELb0EEEvPS3_PS4_i.num_vgpr, 49
	.set _ZN4vllm18act_and_mul_kernelIN3c108BFloat16ETnPFT_RKS3_EXadL_ZNS_11silu_kernelIS2_EES3_S5_EELb0EEEvPS3_PS4_i.num_agpr, 0
	.set _ZN4vllm18act_and_mul_kernelIN3c108BFloat16ETnPFT_RKS3_EXadL_ZNS_11silu_kernelIS2_EES3_S5_EELb0EEEvPS3_PS4_i.numbered_sgpr, 26
	.set _ZN4vllm18act_and_mul_kernelIN3c108BFloat16ETnPFT_RKS3_EXadL_ZNS_11silu_kernelIS2_EES3_S5_EELb0EEEvPS3_PS4_i.num_named_barrier, 0
	.set _ZN4vllm18act_and_mul_kernelIN3c108BFloat16ETnPFT_RKS3_EXadL_ZNS_11silu_kernelIS2_EES3_S5_EELb0EEEvPS3_PS4_i.private_seg_size, 0
	.set _ZN4vllm18act_and_mul_kernelIN3c108BFloat16ETnPFT_RKS3_EXadL_ZNS_11silu_kernelIS2_EES3_S5_EELb0EEEvPS3_PS4_i.uses_vcc, 1
	.set _ZN4vllm18act_and_mul_kernelIN3c108BFloat16ETnPFT_RKS3_EXadL_ZNS_11silu_kernelIS2_EES3_S5_EELb0EEEvPS3_PS4_i.uses_flat_scratch, 0
	.set _ZN4vllm18act_and_mul_kernelIN3c108BFloat16ETnPFT_RKS3_EXadL_ZNS_11silu_kernelIS2_EES3_S5_EELb0EEEvPS3_PS4_i.has_dyn_sized_stack, 0
	.set _ZN4vllm18act_and_mul_kernelIN3c108BFloat16ETnPFT_RKS3_EXadL_ZNS_11silu_kernelIS2_EES3_S5_EELb0EEEvPS3_PS4_i.has_recursion, 0
	.set _ZN4vllm18act_and_mul_kernelIN3c108BFloat16ETnPFT_RKS3_EXadL_ZNS_11silu_kernelIS2_EES3_S5_EELb0EEEvPS3_PS4_i.has_indirect_call, 0
	.section	.AMDGPU.csdata,"",@progbits
; Kernel info:
; codeLenInByte = 2068
; TotalNumSgprs: 32
; NumVgprs: 49
; NumAgprs: 0
; TotalNumVgprs: 49
; ScratchSize: 0
; MemoryBound: 0
; FloatMode: 240
; IeeeMode: 1
; LDSByteSize: 0 bytes/workgroup (compile time only)
; SGPRBlocks: 3
; VGPRBlocks: 6
; NumSGPRsForWavesPerEU: 32
; NumVGPRsForWavesPerEU: 49
; AccumOffset: 52
; Occupancy: 8
; WaveLimiterHint : 0
; COMPUTE_PGM_RSRC2:SCRATCH_EN: 0
; COMPUTE_PGM_RSRC2:USER_SGPR: 2
; COMPUTE_PGM_RSRC2:TRAP_HANDLER: 0
; COMPUTE_PGM_RSRC2:TGID_X_EN: 1
; COMPUTE_PGM_RSRC2:TGID_Y_EN: 0
; COMPUTE_PGM_RSRC2:TGID_Z_EN: 0
; COMPUTE_PGM_RSRC2:TIDIG_COMP_CNT: 0
; COMPUTE_PGM_RSRC3_GFX90A:ACCUM_OFFSET: 12
; COMPUTE_PGM_RSRC3_GFX90A:TG_SPLIT: 0
	.section	.text._ZN4vllm18act_and_mul_kernelIfTnPFT_RKS1_EXadL_ZNS_11gelu_kernelIfEES1_S3_EELb1EEEvPS1_PS2_i,"axG",@progbits,_ZN4vllm18act_and_mul_kernelIfTnPFT_RKS1_EXadL_ZNS_11gelu_kernelIfEES1_S3_EELb1EEEvPS1_PS2_i,comdat
	.protected	_ZN4vllm18act_and_mul_kernelIfTnPFT_RKS1_EXadL_ZNS_11gelu_kernelIfEES1_S3_EELb1EEEvPS1_PS2_i ; -- Begin function _ZN4vllm18act_and_mul_kernelIfTnPFT_RKS1_EXadL_ZNS_11gelu_kernelIfEES1_S3_EELb1EEEvPS1_PS2_i
	.globl	_ZN4vllm18act_and_mul_kernelIfTnPFT_RKS1_EXadL_ZNS_11gelu_kernelIfEES1_S3_EELb1EEEvPS1_PS2_i
	.p2align	8
	.type	_ZN4vllm18act_and_mul_kernelIfTnPFT_RKS1_EXadL_ZNS_11gelu_kernelIfEES1_S3_EELb1EEEvPS1_PS2_i,@function
_ZN4vllm18act_and_mul_kernelIfTnPFT_RKS1_EXadL_ZNS_11gelu_kernelIfEES1_S3_EELb1EEEvPS1_PS2_i: ; @_ZN4vllm18act_and_mul_kernelIfTnPFT_RKS1_EXadL_ZNS_11gelu_kernelIfEES1_S3_EELb1EEEvPS1_PS2_i
; %bb.0:
	s_load_dword s8, s[0:1], 0x10
	s_waitcnt lgkmcnt(0)
	v_cmp_gt_i32_e32 vcc, s8, v0
	s_and_saveexec_b64 s[4:5], vcc
	s_cbranch_execz .LBB6_12
; %bb.1:
	v_mov_b32_e32 v1, 0
	s_load_dwordx4 s[4:7], s[0:1], 0x0
	s_load_dword s10, s[0:1], 0x24
	s_ashr_i32 s9, s8, 31
	v_add_u32_e32 v2, 1, v0
	v_mov_b32_e32 v3, v1
	v_mov_b32_e32 v4, s9
	v_cmp_lt_i64_e32 vcc, s[8:9], v[2:3]
	s_mul_hi_u32 s3, s2, s8
	s_mul_i32 s0, s2, s9
	v_cndmask_b32_e64 v3, v4, 0, vcc
	v_mov_b32_e32 v4, s8
	s_add_i32 s13, s3, s0
	s_mul_i32 s12, s2, s8
	v_cndmask_b32_e32 v2, v4, v2, vcc
	s_lshl_b64 s[14:15], s[12:13], 3
	s_waitcnt lgkmcnt(0)
	s_and_b32 s10, s10, 0xffff
	v_sub_co_u32_e32 v2, vcc, v2, v0
	s_cmp_eq_u32 s10, 1
	s_nop 0
	v_subbrev_co_u32_e32 v3, vcc, 0, v3, vcc
	v_cmp_lt_u64_e32 vcc, 1, v[2:3]
	s_cselect_b64 s[0:1], -1, 0
	s_and_b64 s[18:19], vcc, s[0:1]
	s_mov_b64 s[0:1], -1
	s_and_saveexec_b64 s[16:17], s[18:19]
	s_cbranch_execz .LBB6_5
; %bb.2:
	s_lshl_b64 s[0:1], s[12:13], 2
	s_add_u32 s0, s4, s0
	s_mov_b32 s3, 0
	v_lshlrev_b64 v[10:11], 2, v[0:1]
	s_addc_u32 s1, s5, s1
	v_lshl_add_u64 v[6:7], s[0:1], 0, v[10:11]
	s_lshl_b64 s[0:1], s[2:3], 3
	s_or_b32 s0, s0, 4
	s_mul_i32 s2, s0, s9
	s_mul_hi_u32 s3, s0, s8
	s_add_i32 s2, s3, s2
	s_mul_i32 s1, s1, s8
	s_add_i32 s2, s2, s1
	s_mul_i32 s0, s0, s8
	s_add_u32 s0, s6, s0
	s_addc_u32 s1, s7, s2
	v_lshl_add_u64 v[8:9], s[0:1], 0, v[10:11]
	s_add_u32 s0, s6, s14
	v_and_b32_e32 v4, -2, v2
	v_mov_b32_e32 v5, v3
	s_addc_u32 s1, s7, s15
	v_lshl_add_u64 v[10:11], s[0:1], 0, v[10:11]
	s_mov_b64 s[2:3], 0
	s_mov_b32 s18, 0x3f3504f3
	s_brev_b32 s11, -2
	v_mov_b32_e32 v12, 0xb9c68948
	s_mov_b32 s20, 0x378e98ab
	s_mov_b32 s22, 0x3b7cd369
	;; [unrolled: 1-line block ×9, first 2 shown]
	v_mov_b32_e32 v13, 0x7f800000
	v_mov_b32_e32 v14, 0x3ba10414
	s_mov_b32 s34, 0xba1345e1
	s_mov_b32 s36, 0xbcdac9b8
	;; [unrolled: 1-line block ×5, first 2 shown]
	v_mov_b64_e32 v[16:17], v[4:5]
.LBB6_3:                                ; =>This Inner Loop Header: Depth=1
	global_load_dwordx2 v[18:19], v[10:11], off
	global_load_dwordx2 v[20:21], v[8:9], off
	v_lshl_add_u64 v[16:17], v[16:17], 0, -2
	v_cmp_eq_u64_e32 vcc, 0, v[16:17]
	s_or_b64 s[2:3], vcc, s[2:3]
	v_lshl_add_u64 v[8:9], v[8:9], 0, 8
	v_lshl_add_u64 v[10:11], v[10:11], 0, 8
	s_waitcnt vmcnt(1)
	v_pk_mul_f32 v[22:23], v[18:19], s[18:19] op_sel_hi:[1,0]
	s_nop 0
	v_and_b32_e32 v25, 0x7fffffff, v23
	v_and_b32_e32 v24, 0x7fffffff, v22
	v_pk_mul_f32 v[26:27], v[22:23], v[22:23]
	v_pk_fma_f32 v[28:29], v[24:25], s[20:21], v[12:13] op_sel_hi:[1,0,0]
	v_pk_fma_f32 v[30:31], v[26:27], s[34:35], v[14:15] op_sel_hi:[1,0,0]
	;; [unrolled: 1-line block ×11, first 2 shown]
	v_pk_fma_f32 v[26:27], v[24:25], v[26:27], v[24:25]
	v_pk_fma_f32 v[24:25], v[24:25], v[28:29], v[24:25]
	v_pk_mul_f32 v[18:19], v[18:19], 0.5 op_sel_hi:[1,0]
	v_mul_f32_e32 v15, 0xbfb8aa3b, v25
	v_mul_f32_e32 v28, 0xbfb8aa3b, v24
	v_fma_f32 v29, v25, s19, -v15
	v_rndne_f32_e32 v30, v15
	v_fma_f32 v31, v24, s19, -v28
	v_rndne_f32_e32 v32, v28
	v_fmac_f32_e32 v29, 0xb2a5705f, v25
	v_sub_f32_e32 v15, v15, v30
	v_fmac_f32_e32 v31, 0xb2a5705f, v24
	v_sub_f32_e32 v28, v28, v32
	v_add_f32_e32 v15, v15, v29
	v_add_f32_e32 v28, v28, v31
	v_cvt_i32_f32_e32 v30, v30
	v_cvt_i32_f32_e32 v32, v32
	v_exp_f32_e32 v15, v15
	v_exp_f32_e32 v28, v28
	v_cmp_nlt_f32_e32 vcc, s21, v24
	v_cmp_nlt_f32_e64 s[0:1], s21, v25
	v_ldexp_f32 v15, v15, v30
	v_ldexp_f32 v28, v28, v32
	v_cndmask_b32_e64 v15, 0, v15, s[0:1]
	v_cndmask_b32_e32 v28, 0, v28, vcc
	v_cmp_ngt_f32_e32 vcc, s23, v24
	v_cmp_ngt_f32_e64 s[0:1], s23, v25
	s_nop 0
	v_cndmask_b32_e32 v24, v13, v28, vcc
	v_cndmask_b32_e64 v25, v13, v15, s[0:1]
	v_pk_add_f32 v[24:25], v[24:25], 1.0 op_sel_hi:[1,0] neg_lo:[1,0] neg_hi:[1,0]
	v_cmp_lt_f32_e64 vcc, |v23|, 1.0
	v_cmp_lt_f32_e64 s[0:1], |v22|, 1.0
	s_nop 1
	v_cndmask_b32_e64 v15, v24, v26, s[0:1]
	v_cndmask_b32_e32 v24, v25, v27, vcc
	v_bfi_b32 v23, s11, v24, v23
	v_bfi_b32 v22, s11, v15, v22
	v_pk_add_f32 v[22:23], v[22:23], 1.0 op_sel_hi:[1,0]
	s_nop 0
	v_pk_mul_f32 v[18:19], v[18:19], v[22:23]
	s_waitcnt vmcnt(0)
	v_pk_mul_f32 v[18:19], v[20:21], v[18:19]
	global_store_dwordx2 v[6:7], v[18:19], off
	v_lshl_add_u64 v[6:7], v[6:7], 0, 8
	s_andn2_b64 exec, exec, s[2:3]
	s_cbranch_execnz .LBB6_3
; %bb.4:
	s_or_b64 exec, exec, s[2:3]
	v_cmp_ne_u64_e32 vcc, v[2:3], v[4:5]
	v_lshl_add_u64 v[0:1], v[4:5], 0, v[0:1]
	s_orn2_b64 s[0:1], vcc, exec
.LBB6_5:
	s_or_b64 exec, exec, s[16:17]
	s_and_b64 exec, exec, s[0:1]
	s_cbranch_execz .LBB6_12
; %bb.6:
	s_add_u32 s0, s6, s14
	s_addc_u32 s1, s7, s15
	s_lshl_b64 s[2:3], s[8:9], 2
	s_add_u32 s2, s0, s2
	s_addc_u32 s3, s1, s3
	s_lshl_b64 s[6:7], s[12:13], 2
	s_add_u32 s4, s4, s6
	s_mov_b32 s11, 0
                                        ; implicit-def: $vgpr5
                                        ; implicit-def: $vgpr5
	;; [unrolled: 1-line block ×4, first 2 shown]
	s_addc_u32 s5, s5, s7
	v_lshlrev_b64 v[2:3], 2, v[0:1]
	s_lshl_b32 s6, s10, 2
	s_mov_b32 s7, s11
	s_mov_b64 s[12:13], 0
	s_mov_b32 s16, 0x378e98ab
	s_mov_b32 s17, 0x3b7cd369
	;; [unrolled: 1-line block ×9, first 2 shown]
	v_mov_b32_e32 v4, 0x3ba10414
	s_brev_b32 s25, -2
	v_mov_b32_e32 v5, 0xb9c68948
	v_mov_b32_e32 v6, 0x7f800000
	s_branch .LBB6_8
.LBB6_7:                                ;   in Loop: Header=BB6_8 Depth=1
	s_or_b64 exec, exec, s[14:15]
	v_bfi_b32 v9, s25, v10, v9
	v_mul_f32_e32 v8, 0.5, v8
	v_add_f32_e32 v9, 1.0, v9
	v_lshl_add_u64 v[0:1], v[0:1], 0, s[10:11]
	v_mul_f32_e32 v8, v8, v9
	v_cmp_le_i64_e32 vcc, s[8:9], v[0:1]
	s_waitcnt vmcnt(0)
	v_mul_f32_e32 v7, v7, v8
	v_lshl_add_u64 v[8:9], s[4:5], 0, v[2:3]
	s_or_b64 s[12:13], vcc, s[12:13]
	v_lshl_add_u64 v[2:3], v[2:3], 0, s[6:7]
	global_store_dword v[8:9], v7, off
	s_andn2_b64 exec, exec, s[12:13]
	s_cbranch_execz .LBB6_12
.LBB6_8:                                ; =>This Inner Loop Header: Depth=1
	v_lshl_add_u64 v[8:9], s[0:1], 0, v[2:3]
	global_load_dword v8, v[8:9], off
	v_lshl_add_u64 v[10:11], s[2:3], 0, v[2:3]
	global_load_dword v7, v[10:11], off
                                        ; implicit-def: $vgpr10
	s_waitcnt vmcnt(1)
	v_mul_f32_e32 v9, 0x3f3504f3, v8
	v_cmp_nlt_f32_e64 s[14:15], |v9|, 1.0
	s_and_saveexec_b64 s[26:27], s[14:15]
	s_xor_b64 s[14:15], exec, s[26:27]
	s_cbranch_execz .LBB6_10
; %bb.9:                                ;   in Loop: Header=BB6_8 Depth=1
	v_fma_f32 v10, |v9|, s16, v5
	v_fma_f32 v10, |v9|, v10, s17
	;; [unrolled: 1-line block ×6, first 2 shown]
	v_fma_f32 v10, |v9|, v10, |v9|
	v_mul_f32_e32 v11, 0xbfb8aa3b, v10
	v_fma_f32 v12, v10, s22, -v11
	v_rndne_f32_e32 v13, v11
	v_fmac_f32_e32 v12, 0xb2a5705f, v10
	v_sub_f32_e32 v11, v11, v13
	v_add_f32_e32 v11, v11, v12
	v_cvt_i32_f32_e32 v12, v13
	v_exp_f32_e32 v11, v11
	v_cmp_nlt_f32_e32 vcc, s23, v10
	v_ldexp_f32 v11, v11, v12
	s_nop 0
	v_cndmask_b32_e32 v11, 0, v11, vcc
	v_cmp_ngt_f32_e32 vcc, s24, v10
	s_nop 1
	v_cndmask_b32_e32 v10, v6, v11, vcc
	v_sub_f32_e32 v10, 1.0, v10
.LBB6_10:                               ;   in Loop: Header=BB6_8 Depth=1
	s_andn2_saveexec_b64 s[14:15], s[14:15]
	s_cbranch_execz .LBB6_7
; %bb.11:                               ;   in Loop: Header=BB6_8 Depth=1
	v_mul_f32_e32 v10, v9, v9
	v_fmamk_f32 v11, v10, 0xba1345e1, v4
	v_fmaak_f32 v11, v10, v11, 0xbcdac9b8
	v_fmaak_f32 v11, v10, v11, 0x3de703be
	;; [unrolled: 1-line block ×4, first 2 shown]
	v_fma_f32 v10, |v9|, v10, |v9|
	s_branch .LBB6_7
.LBB6_12:
	s_endpgm
	.section	.rodata,"a",@progbits
	.p2align	6, 0x0
	.amdhsa_kernel _ZN4vllm18act_and_mul_kernelIfTnPFT_RKS1_EXadL_ZNS_11gelu_kernelIfEES1_S3_EELb1EEEvPS1_PS2_i
		.amdhsa_group_segment_fixed_size 0
		.amdhsa_private_segment_fixed_size 0
		.amdhsa_kernarg_size 280
		.amdhsa_user_sgpr_count 2
		.amdhsa_user_sgpr_dispatch_ptr 0
		.amdhsa_user_sgpr_queue_ptr 0
		.amdhsa_user_sgpr_kernarg_segment_ptr 1
		.amdhsa_user_sgpr_dispatch_id 0
		.amdhsa_user_sgpr_kernarg_preload_length 0
		.amdhsa_user_sgpr_kernarg_preload_offset 0
		.amdhsa_user_sgpr_private_segment_size 0
		.amdhsa_uses_dynamic_stack 0
		.amdhsa_enable_private_segment 0
		.amdhsa_system_sgpr_workgroup_id_x 1
		.amdhsa_system_sgpr_workgroup_id_y 0
		.amdhsa_system_sgpr_workgroup_id_z 0
		.amdhsa_system_sgpr_workgroup_info 0
		.amdhsa_system_vgpr_workitem_id 0
		.amdhsa_next_free_vgpr 33
		.amdhsa_next_free_sgpr 44
		.amdhsa_accum_offset 36
		.amdhsa_reserve_vcc 1
		.amdhsa_float_round_mode_32 0
		.amdhsa_float_round_mode_16_64 0
		.amdhsa_float_denorm_mode_32 3
		.amdhsa_float_denorm_mode_16_64 3
		.amdhsa_dx10_clamp 1
		.amdhsa_ieee_mode 1
		.amdhsa_fp16_overflow 0
		.amdhsa_tg_split 0
		.amdhsa_exception_fp_ieee_invalid_op 0
		.amdhsa_exception_fp_denorm_src 0
		.amdhsa_exception_fp_ieee_div_zero 0
		.amdhsa_exception_fp_ieee_overflow 0
		.amdhsa_exception_fp_ieee_underflow 0
		.amdhsa_exception_fp_ieee_inexact 0
		.amdhsa_exception_int_div_zero 0
	.end_amdhsa_kernel
	.section	.text._ZN4vllm18act_and_mul_kernelIfTnPFT_RKS1_EXadL_ZNS_11gelu_kernelIfEES1_S3_EELb1EEEvPS1_PS2_i,"axG",@progbits,_ZN4vllm18act_and_mul_kernelIfTnPFT_RKS1_EXadL_ZNS_11gelu_kernelIfEES1_S3_EELb1EEEvPS1_PS2_i,comdat
.Lfunc_end6:
	.size	_ZN4vllm18act_and_mul_kernelIfTnPFT_RKS1_EXadL_ZNS_11gelu_kernelIfEES1_S3_EELb1EEEvPS1_PS2_i, .Lfunc_end6-_ZN4vllm18act_and_mul_kernelIfTnPFT_RKS1_EXadL_ZNS_11gelu_kernelIfEES1_S3_EELb1EEEvPS1_PS2_i
                                        ; -- End function
	.set _ZN4vllm18act_and_mul_kernelIfTnPFT_RKS1_EXadL_ZNS_11gelu_kernelIfEES1_S3_EELb1EEEvPS1_PS2_i.num_vgpr, 33
	.set _ZN4vllm18act_and_mul_kernelIfTnPFT_RKS1_EXadL_ZNS_11gelu_kernelIfEES1_S3_EELb1EEEvPS1_PS2_i.num_agpr, 0
	.set _ZN4vllm18act_and_mul_kernelIfTnPFT_RKS1_EXadL_ZNS_11gelu_kernelIfEES1_S3_EELb1EEEvPS1_PS2_i.numbered_sgpr, 44
	.set _ZN4vllm18act_and_mul_kernelIfTnPFT_RKS1_EXadL_ZNS_11gelu_kernelIfEES1_S3_EELb1EEEvPS1_PS2_i.num_named_barrier, 0
	.set _ZN4vllm18act_and_mul_kernelIfTnPFT_RKS1_EXadL_ZNS_11gelu_kernelIfEES1_S3_EELb1EEEvPS1_PS2_i.private_seg_size, 0
	.set _ZN4vllm18act_and_mul_kernelIfTnPFT_RKS1_EXadL_ZNS_11gelu_kernelIfEES1_S3_EELb1EEEvPS1_PS2_i.uses_vcc, 1
	.set _ZN4vllm18act_and_mul_kernelIfTnPFT_RKS1_EXadL_ZNS_11gelu_kernelIfEES1_S3_EELb1EEEvPS1_PS2_i.uses_flat_scratch, 0
	.set _ZN4vllm18act_and_mul_kernelIfTnPFT_RKS1_EXadL_ZNS_11gelu_kernelIfEES1_S3_EELb1EEEvPS1_PS2_i.has_dyn_sized_stack, 0
	.set _ZN4vllm18act_and_mul_kernelIfTnPFT_RKS1_EXadL_ZNS_11gelu_kernelIfEES1_S3_EELb1EEEvPS1_PS2_i.has_recursion, 0
	.set _ZN4vllm18act_and_mul_kernelIfTnPFT_RKS1_EXadL_ZNS_11gelu_kernelIfEES1_S3_EELb1EEEvPS1_PS2_i.has_indirect_call, 0
	.section	.AMDGPU.csdata,"",@progbits
; Kernel info:
; codeLenInByte = 1420
; TotalNumSgprs: 50
; NumVgprs: 33
; NumAgprs: 0
; TotalNumVgprs: 33
; ScratchSize: 0
; MemoryBound: 0
; FloatMode: 240
; IeeeMode: 1
; LDSByteSize: 0 bytes/workgroup (compile time only)
; SGPRBlocks: 6
; VGPRBlocks: 4
; NumSGPRsForWavesPerEU: 50
; NumVGPRsForWavesPerEU: 33
; AccumOffset: 36
; Occupancy: 8
; WaveLimiterHint : 0
; COMPUTE_PGM_RSRC2:SCRATCH_EN: 0
; COMPUTE_PGM_RSRC2:USER_SGPR: 2
; COMPUTE_PGM_RSRC2:TRAP_HANDLER: 0
; COMPUTE_PGM_RSRC2:TGID_X_EN: 1
; COMPUTE_PGM_RSRC2:TGID_Y_EN: 0
; COMPUTE_PGM_RSRC2:TGID_Z_EN: 0
; COMPUTE_PGM_RSRC2:TIDIG_COMP_CNT: 0
; COMPUTE_PGM_RSRC3_GFX90A:ACCUM_OFFSET: 8
; COMPUTE_PGM_RSRC3_GFX90A:TG_SPLIT: 0
	.section	.text._ZN4vllm18act_and_mul_kernelIN3c104HalfETnPFT_RKS3_EXadL_ZNS_11gelu_kernelIS2_EES3_S5_EELb1EEEvPS3_PS4_i,"axG",@progbits,_ZN4vllm18act_and_mul_kernelIN3c104HalfETnPFT_RKS3_EXadL_ZNS_11gelu_kernelIS2_EES3_S5_EELb1EEEvPS3_PS4_i,comdat
	.protected	_ZN4vllm18act_and_mul_kernelIN3c104HalfETnPFT_RKS3_EXadL_ZNS_11gelu_kernelIS2_EES3_S5_EELb1EEEvPS3_PS4_i ; -- Begin function _ZN4vllm18act_and_mul_kernelIN3c104HalfETnPFT_RKS3_EXadL_ZNS_11gelu_kernelIS2_EES3_S5_EELb1EEEvPS3_PS4_i
	.globl	_ZN4vllm18act_and_mul_kernelIN3c104HalfETnPFT_RKS3_EXadL_ZNS_11gelu_kernelIS2_EES3_S5_EELb1EEEvPS3_PS4_i
	.p2align	8
	.type	_ZN4vllm18act_and_mul_kernelIN3c104HalfETnPFT_RKS3_EXadL_ZNS_11gelu_kernelIS2_EES3_S5_EELb1EEEvPS3_PS4_i,@function
_ZN4vllm18act_and_mul_kernelIN3c104HalfETnPFT_RKS3_EXadL_ZNS_11gelu_kernelIS2_EES3_S5_EELb1EEEvPS3_PS4_i: ; @_ZN4vllm18act_and_mul_kernelIN3c104HalfETnPFT_RKS3_EXadL_ZNS_11gelu_kernelIS2_EES3_S5_EELb1EEEvPS3_PS4_i
; %bb.0:
	s_load_dword s6, s[0:1], 0x10
	s_waitcnt lgkmcnt(0)
	v_cmp_gt_i32_e32 vcc, s6, v0
	s_and_saveexec_b64 s[4:5], vcc
	s_cbranch_execz .LBB7_12
; %bb.1:
	v_mov_b32_e32 v1, 0
	s_load_dwordx4 s[8:11], s[0:1], 0x0
	s_load_dword s4, s[0:1], 0x24
	s_ashr_i32 s7, s6, 31
	v_add_u32_e32 v2, 1, v0
	v_mov_b32_e32 v3, v1
	v_mov_b32_e32 v4, s7
	v_cmp_lt_i64_e32 vcc, s[6:7], v[2:3]
	s_mul_hi_u32 s3, s2, s6
	s_mul_i32 s0, s2, s7
	v_cndmask_b32_e64 v3, v4, 0, vcc
	v_mov_b32_e32 v4, s6
	s_add_i32 s15, s3, s0
	s_mul_i32 s14, s2, s6
	v_cndmask_b32_e32 v2, v4, v2, vcc
	s_lshl_b64 s[16:17], s[14:15], 2
	s_waitcnt lgkmcnt(0)
	s_and_b32 s12, s4, 0xffff
	v_sub_co_u32_e32 v2, vcc, v2, v0
	s_cmp_eq_u32 s12, 1
	s_nop 0
	v_subbrev_co_u32_e32 v3, vcc, 0, v3, vcc
	v_cmp_lt_u64_e32 vcc, 3, v[2:3]
	s_cselect_b64 s[0:1], -1, 0
	s_and_b64 s[4:5], vcc, s[0:1]
	s_mov_b64 s[0:1], -1
	s_and_saveexec_b64 s[18:19], s[4:5]
	s_cbranch_execz .LBB7_5
; %bb.2:
	s_lshl_b64 s[0:1], s[14:15], 1
	s_add_u32 s0, s8, s0
	s_mov_b32 s3, 0
	v_lshlrev_b64 v[10:11], 1, v[0:1]
	s_addc_u32 s1, s9, s1
	v_lshl_add_u64 v[6:7], s[0:1], 0, v[10:11]
	s_lshl_b64 s[0:1], s[2:3], 2
	s_or_b32 s0, s0, 2
	s_mul_i32 s2, s0, s7
	s_mul_hi_u32 s3, s0, s6
	s_add_i32 s2, s3, s2
	s_mul_i32 s1, s1, s6
	s_add_i32 s2, s2, s1
	s_mul_i32 s0, s0, s6
	s_add_u32 s0, s10, s0
	s_addc_u32 s1, s11, s2
	v_lshl_add_u64 v[8:9], s[0:1], 0, v[10:11]
	s_add_u32 s0, s10, s16
	s_addc_u32 s1, s11, s17
	v_lshl_add_u64 v[10:11], s[0:1], 0, v[10:11]
	s_mov_b32 s0, 0xb9c68948
	v_and_b32_e32 v4, -4, v2
	v_mov_b32_e32 v5, v3
	v_mov_b64_e32 v[12:13], s[0:1]
	s_mov_b32 s0, 0x3ba10414
	s_mov_b64 s[20:21], 0
	s_mov_b32 s22, 0x3f3504f3
	s_brev_b32 s13, -2
	s_mov_b32 s24, 0x378e98ab
	s_mov_b32 s26, 0x3b7cd369
	;; [unrolled: 1-line block ×9, first 2 shown]
	v_mov_b32_e32 v22, 0x7f800000
	s_mov_b32 s38, 0xba1345e1
	v_mov_b64_e32 v[14:15], s[0:1]
	s_mov_b32 s40, 0xbcdac9b8
	s_mov_b32 s42, 0x3de703be
	;; [unrolled: 1-line block ×4, first 2 shown]
	v_mov_b64_e32 v[16:17], v[4:5]
.LBB7_3:                                ; =>This Inner Loop Header: Depth=1
	global_load_dwordx2 v[20:21], v[10:11], off
	global_load_dwordx2 v[18:19], v[8:9], off
	v_lshl_add_u64 v[16:17], v[16:17], 0, -4
	v_cmp_eq_u64_e32 vcc, 0, v[16:17]
	s_or_b64 s[20:21], vcc, s[20:21]
	v_lshl_add_u64 v[8:9], v[8:9], 0, 8
	v_lshl_add_u64 v[10:11], v[10:11], 0, 8
	s_waitcnt vmcnt(1)
	v_cvt_f32_f16_sdwa v25, v20 dst_sel:DWORD dst_unused:UNUSED_PAD src0_sel:WORD_1
	v_cvt_f32_f16_sdwa v27, v21 dst_sel:DWORD dst_unused:UNUSED_PAD src0_sel:WORD_1
	v_cvt_f32_f16_e32 v26, v21
	v_cvt_f32_f16_e32 v24, v20
	v_pk_mul_f32 v[20:21], v[26:27], s[22:23] op_sel_hi:[1,0]
	v_pk_mul_f32 v[28:29], v[24:25], s[22:23] op_sel_hi:[1,0]
	v_and_b32_e32 v33, 0x7fffffff, v21
	v_and_b32_e32 v31, 0x7fffffff, v29
	;; [unrolled: 1-line block ×4, first 2 shown]
	v_pk_mul_f32 v[34:35], v[20:21], v[20:21]
	v_pk_mul_f32 v[36:37], v[28:29], v[28:29]
	v_pk_fma_f32 v[38:39], v[30:31], s[24:25], v[12:13] op_sel_hi:[1,0,0]
	v_pk_fma_f32 v[40:41], v[32:33], s[24:25], v[12:13] op_sel_hi:[1,0,0]
	;; [unrolled: 1-line block ×22, first 2 shown]
	v_pk_fma_f32 v[34:35], v[32:33], v[34:35], v[32:33]
	v_pk_fma_f32 v[36:37], v[30:31], v[36:37], v[30:31]
	;; [unrolled: 1-line block ×4, first 2 shown]
	v_mul_f32_e32 v23, 0xbfb8aa3b, v30
	v_mul_f32_e32 v38, 0xbfb8aa3b, v31
	;; [unrolled: 1-line block ×4, first 2 shown]
	v_fma_f32 v41, v30, s23, -v23
	v_rndne_f32_e32 v42, v23
	v_fma_f32 v43, v31, s23, -v38
	v_rndne_f32_e32 v44, v38
	;; [unrolled: 2-line block ×4, first 2 shown]
	v_fmac_f32_e32 v41, 0xb2a5705f, v30
	v_sub_f32_e32 v23, v23, v42
	v_fmac_f32_e32 v43, 0xb2a5705f, v31
	v_sub_f32_e32 v38, v38, v44
	;; [unrolled: 2-line block ×4, first 2 shown]
	v_add_f32_e32 v23, v23, v41
	v_add_f32_e32 v38, v38, v43
	;; [unrolled: 1-line block ×4, first 2 shown]
	v_cvt_i32_f32_e32 v42, v42
	v_cvt_i32_f32_e32 v44, v44
	;; [unrolled: 1-line block ×4, first 2 shown]
	v_exp_f32_e32 v23, v23
	v_exp_f32_e32 v38, v38
	;; [unrolled: 1-line block ×4, first 2 shown]
	v_ldexp_f32 v23, v23, v42
	v_ldexp_f32 v38, v38, v44
	v_cmp_nlt_f32_e32 vcc, s25, v31
	v_ldexp_f32 v39, v39, v46
	v_cmp_nlt_f32_e64 s[0:1], s25, v32
	v_ldexp_f32 v40, v40, v48
	v_cmp_nlt_f32_e64 s[2:3], s25, v33
	v_cmp_nlt_f32_e64 s[4:5], s25, v30
	v_cndmask_b32_e32 v38, 0, v38, vcc
	v_cmp_ngt_f32_e32 vcc, s27, v31
	v_cndmask_b32_e64 v23, 0, v23, s[4:5]
	v_cndmask_b32_e64 v31, 0, v39, s[0:1]
	v_cmp_ngt_f32_e64 s[0:1], s27, v32
	v_cndmask_b32_e64 v32, 0, v40, s[2:3]
	v_cmp_ngt_f32_e64 s[2:3], s27, v33
	v_cmp_ngt_f32_e64 s[4:5], s27, v30
	v_cndmask_b32_e32 v30, v22, v38, vcc
	v_cndmask_b32_e64 v31, v22, v31, s[0:1]
	v_cndmask_b32_e64 v23, v22, v23, s[4:5]
	;; [unrolled: 1-line block ×3, first 2 shown]
	v_sub_f32_e32 v32, 1.0, v32
	v_cmp_lt_f32_e64 vcc, |v21|, 1.0
	v_sub_f32_e32 v31, 1.0, v31
	v_cmp_lt_f32_e64 s[0:1], |v20|, 1.0
	v_sub_f32_e32 v30, 1.0, v30
	v_cmp_lt_f32_e64 s[2:3], |v29|, 1.0
	;; [unrolled: 2-line block ×3, first 2 shown]
	v_cndmask_b32_e64 v30, v30, v37, s[2:3]
	v_cndmask_b32_e64 v31, v31, v34, s[0:1]
	;; [unrolled: 1-line block ×3, first 2 shown]
	v_cndmask_b32_e32 v32, v32, v35, vcc
	v_bfi_b32 v21, s13, v32, v21
	v_bfi_b32 v20, s13, v31, v20
	;; [unrolled: 1-line block ×4, first 2 shown]
	v_pk_mul_f32 v[24:25], v[24:25], 0.5 op_sel_hi:[1,0]
	v_pk_mul_f32 v[26:27], v[26:27], 0.5 op_sel_hi:[1,0]
	v_pk_add_f32 v[28:29], v[28:29], 1.0 op_sel_hi:[1,0]
	v_pk_add_f32 v[20:21], v[20:21], 1.0 op_sel_hi:[1,0]
	v_pk_mul_f32 v[24:25], v[24:25], v[28:29]
	v_pk_mul_f32 v[20:21], v[26:27], v[20:21]
	v_cvt_pk_f16_f32 v23, v24, v25
	v_cvt_pk_f16_f32 v20, v20, v21
	s_waitcnt vmcnt(0)
	v_pk_mul_f16 v19, v19, v20
	v_pk_mul_f16 v18, v18, v23
	global_store_dwordx2 v[6:7], v[18:19], off
	v_lshl_add_u64 v[6:7], v[6:7], 0, 8
	s_andn2_b64 exec, exec, s[20:21]
	s_cbranch_execnz .LBB7_3
; %bb.4:
	s_or_b64 exec, exec, s[20:21]
	v_cmp_ne_u64_e32 vcc, v[2:3], v[4:5]
	v_lshl_add_u64 v[0:1], v[4:5], 0, v[0:1]
	s_orn2_b64 s[0:1], vcc, exec
.LBB7_5:
	s_or_b64 exec, exec, s[18:19]
	s_and_b64 exec, exec, s[0:1]
	s_cbranch_execz .LBB7_12
; %bb.6:
	s_add_u32 s0, s10, s16
	s_addc_u32 s1, s11, s17
	s_lshl_b64 s[2:3], s[6:7], 1
	s_add_u32 s2, s0, s2
	s_addc_u32 s3, s1, s3
	s_lshl_b64 s[4:5], s[14:15], 1
	s_add_u32 s4, s8, s4
	s_mov_b32 s13, 0
                                        ; implicit-def: $vgpr5
                                        ; implicit-def: $vgpr5
	;; [unrolled: 1-line block ×4, first 2 shown]
	s_addc_u32 s5, s9, s5
	v_lshlrev_b64 v[2:3], 1, v[0:1]
	s_lshl_b32 s8, s12, 1
	s_mov_b32 s9, s13
	s_mov_b64 s[10:11], 0
	s_mov_b32 s16, 0x378e98ab
	s_mov_b32 s17, 0x3b7cd369
	;; [unrolled: 1-line block ×9, first 2 shown]
	v_mov_b32_e32 v4, 0x3ba10414
	s_brev_b32 s25, -2
	v_mov_b32_e32 v5, 0xb9c68948
	v_mov_b32_e32 v6, 0x7f800000
	s_branch .LBB7_8
.LBB7_7:                                ;   in Loop: Header=BB7_8 Depth=1
	s_or_b64 exec, exec, s[14:15]
	v_bfi_b32 v9, s25, v10, v9
	v_mul_f32_e32 v8, 0.5, v8
	v_add_f32_e32 v9, 1.0, v9
	v_lshl_add_u64 v[0:1], v[0:1], 0, s[12:13]
	v_fma_mixlo_f16 v8, v8, v9, 0
	v_cmp_le_i64_e32 vcc, s[6:7], v[0:1]
	s_waitcnt vmcnt(0)
	v_mul_f16_e32 v7, v7, v8
	v_lshl_add_u64 v[8:9], s[4:5], 0, v[2:3]
	s_or_b64 s[10:11], vcc, s[10:11]
	v_lshl_add_u64 v[2:3], v[2:3], 0, s[8:9]
	global_store_short v[8:9], v7, off
	s_andn2_b64 exec, exec, s[10:11]
	s_cbranch_execz .LBB7_12
.LBB7_8:                                ; =>This Inner Loop Header: Depth=1
	v_lshl_add_u64 v[8:9], s[0:1], 0, v[2:3]
	global_load_ushort v10, v[8:9], off
	v_lshl_add_u64 v[8:9], s[2:3], 0, v[2:3]
	global_load_ushort v7, v[8:9], off
	s_waitcnt vmcnt(1)
	v_cvt_f32_f16_e32 v8, v10
                                        ; implicit-def: $vgpr10
	v_mul_f32_e32 v9, 0x3f3504f3, v8
	v_cmp_nlt_f32_e64 s[14:15], |v9|, 1.0
	s_and_saveexec_b64 s[26:27], s[14:15]
	s_xor_b64 s[14:15], exec, s[26:27]
	s_cbranch_execz .LBB7_10
; %bb.9:                                ;   in Loop: Header=BB7_8 Depth=1
	v_fma_f32 v10, |v9|, s16, v5
	v_fma_f32 v10, |v9|, v10, s17
	;; [unrolled: 1-line block ×6, first 2 shown]
	v_fma_f32 v10, |v9|, v10, |v9|
	v_mul_f32_e32 v11, 0xbfb8aa3b, v10
	v_fma_f32 v12, v10, s22, -v11
	v_rndne_f32_e32 v13, v11
	v_fmac_f32_e32 v12, 0xb2a5705f, v10
	v_sub_f32_e32 v11, v11, v13
	v_add_f32_e32 v11, v11, v12
	v_cvt_i32_f32_e32 v12, v13
	v_exp_f32_e32 v11, v11
	v_cmp_nlt_f32_e32 vcc, s23, v10
	v_ldexp_f32 v11, v11, v12
	s_nop 0
	v_cndmask_b32_e32 v11, 0, v11, vcc
	v_cmp_ngt_f32_e32 vcc, s24, v10
	s_nop 1
	v_cndmask_b32_e32 v10, v6, v11, vcc
	v_sub_f32_e32 v10, 1.0, v10
.LBB7_10:                               ;   in Loop: Header=BB7_8 Depth=1
	s_andn2_saveexec_b64 s[14:15], s[14:15]
	s_cbranch_execz .LBB7_7
; %bb.11:                               ;   in Loop: Header=BB7_8 Depth=1
	v_mul_f32_e32 v10, v9, v9
	v_fmamk_f32 v11, v10, 0xba1345e1, v4
	v_fmaak_f32 v11, v10, v11, 0xbcdac9b8
	v_fmaak_f32 v11, v10, v11, 0x3de703be
	;; [unrolled: 1-line block ×4, first 2 shown]
	v_fma_f32 v10, |v9|, v10, |v9|
	s_branch .LBB7_7
.LBB7_12:
	s_endpgm
	.section	.rodata,"a",@progbits
	.p2align	6, 0x0
	.amdhsa_kernel _ZN4vllm18act_and_mul_kernelIN3c104HalfETnPFT_RKS3_EXadL_ZNS_11gelu_kernelIS2_EES3_S5_EELb1EEEvPS3_PS4_i
		.amdhsa_group_segment_fixed_size 0
		.amdhsa_private_segment_fixed_size 0
		.amdhsa_kernarg_size 280
		.amdhsa_user_sgpr_count 2
		.amdhsa_user_sgpr_dispatch_ptr 0
		.amdhsa_user_sgpr_queue_ptr 0
		.amdhsa_user_sgpr_kernarg_segment_ptr 1
		.amdhsa_user_sgpr_dispatch_id 0
		.amdhsa_user_sgpr_kernarg_preload_length 0
		.amdhsa_user_sgpr_kernarg_preload_offset 0
		.amdhsa_user_sgpr_private_segment_size 0
		.amdhsa_uses_dynamic_stack 0
		.amdhsa_enable_private_segment 0
		.amdhsa_system_sgpr_workgroup_id_x 1
		.amdhsa_system_sgpr_workgroup_id_y 0
		.amdhsa_system_sgpr_workgroup_id_z 0
		.amdhsa_system_sgpr_workgroup_info 0
		.amdhsa_system_vgpr_workitem_id 0
		.amdhsa_next_free_vgpr 49
		.amdhsa_next_free_sgpr 48
		.amdhsa_accum_offset 52
		.amdhsa_reserve_vcc 1
		.amdhsa_float_round_mode_32 0
		.amdhsa_float_round_mode_16_64 0
		.amdhsa_float_denorm_mode_32 3
		.amdhsa_float_denorm_mode_16_64 3
		.amdhsa_dx10_clamp 1
		.amdhsa_ieee_mode 1
		.amdhsa_fp16_overflow 0
		.amdhsa_tg_split 0
		.amdhsa_exception_fp_ieee_invalid_op 0
		.amdhsa_exception_fp_denorm_src 0
		.amdhsa_exception_fp_ieee_div_zero 0
		.amdhsa_exception_fp_ieee_overflow 0
		.amdhsa_exception_fp_ieee_underflow 0
		.amdhsa_exception_fp_ieee_inexact 0
		.amdhsa_exception_int_div_zero 0
	.end_amdhsa_kernel
	.section	.text._ZN4vllm18act_and_mul_kernelIN3c104HalfETnPFT_RKS3_EXadL_ZNS_11gelu_kernelIS2_EES3_S5_EELb1EEEvPS3_PS4_i,"axG",@progbits,_ZN4vllm18act_and_mul_kernelIN3c104HalfETnPFT_RKS3_EXadL_ZNS_11gelu_kernelIS2_EES3_S5_EELb1EEEvPS3_PS4_i,comdat
.Lfunc_end7:
	.size	_ZN4vllm18act_and_mul_kernelIN3c104HalfETnPFT_RKS3_EXadL_ZNS_11gelu_kernelIS2_EES3_S5_EELb1EEEvPS3_PS4_i, .Lfunc_end7-_ZN4vllm18act_and_mul_kernelIN3c104HalfETnPFT_RKS3_EXadL_ZNS_11gelu_kernelIS2_EES3_S5_EELb1EEEvPS3_PS4_i
                                        ; -- End function
	.set _ZN4vllm18act_and_mul_kernelIN3c104HalfETnPFT_RKS3_EXadL_ZNS_11gelu_kernelIS2_EES3_S5_EELb1EEEvPS3_PS4_i.num_vgpr, 49
	.set _ZN4vllm18act_and_mul_kernelIN3c104HalfETnPFT_RKS3_EXadL_ZNS_11gelu_kernelIS2_EES3_S5_EELb1EEEvPS3_PS4_i.num_agpr, 0
	.set _ZN4vllm18act_and_mul_kernelIN3c104HalfETnPFT_RKS3_EXadL_ZNS_11gelu_kernelIS2_EES3_S5_EELb1EEEvPS3_PS4_i.numbered_sgpr, 48
	.set _ZN4vllm18act_and_mul_kernelIN3c104HalfETnPFT_RKS3_EXadL_ZNS_11gelu_kernelIS2_EES3_S5_EELb1EEEvPS3_PS4_i.num_named_barrier, 0
	.set _ZN4vllm18act_and_mul_kernelIN3c104HalfETnPFT_RKS3_EXadL_ZNS_11gelu_kernelIS2_EES3_S5_EELb1EEEvPS3_PS4_i.private_seg_size, 0
	.set _ZN4vllm18act_and_mul_kernelIN3c104HalfETnPFT_RKS3_EXadL_ZNS_11gelu_kernelIS2_EES3_S5_EELb1EEEvPS3_PS4_i.uses_vcc, 1
	.set _ZN4vllm18act_and_mul_kernelIN3c104HalfETnPFT_RKS3_EXadL_ZNS_11gelu_kernelIS2_EES3_S5_EELb1EEEvPS3_PS4_i.uses_flat_scratch, 0
	.set _ZN4vllm18act_and_mul_kernelIN3c104HalfETnPFT_RKS3_EXadL_ZNS_11gelu_kernelIS2_EES3_S5_EELb1EEEvPS3_PS4_i.has_dyn_sized_stack, 0
	.set _ZN4vllm18act_and_mul_kernelIN3c104HalfETnPFT_RKS3_EXadL_ZNS_11gelu_kernelIS2_EES3_S5_EELb1EEEvPS3_PS4_i.has_recursion, 0
	.set _ZN4vllm18act_and_mul_kernelIN3c104HalfETnPFT_RKS3_EXadL_ZNS_11gelu_kernelIS2_EES3_S5_EELb1EEEvPS3_PS4_i.has_indirect_call, 0
	.section	.AMDGPU.csdata,"",@progbits
; Kernel info:
; codeLenInByte = 1852
; TotalNumSgprs: 54
; NumVgprs: 49
; NumAgprs: 0
; TotalNumVgprs: 49
; ScratchSize: 0
; MemoryBound: 0
; FloatMode: 240
; IeeeMode: 1
; LDSByteSize: 0 bytes/workgroup (compile time only)
; SGPRBlocks: 6
; VGPRBlocks: 6
; NumSGPRsForWavesPerEU: 54
; NumVGPRsForWavesPerEU: 49
; AccumOffset: 52
; Occupancy: 8
; WaveLimiterHint : 0
; COMPUTE_PGM_RSRC2:SCRATCH_EN: 0
; COMPUTE_PGM_RSRC2:USER_SGPR: 2
; COMPUTE_PGM_RSRC2:TRAP_HANDLER: 0
; COMPUTE_PGM_RSRC2:TGID_X_EN: 1
; COMPUTE_PGM_RSRC2:TGID_Y_EN: 0
; COMPUTE_PGM_RSRC2:TGID_Z_EN: 0
; COMPUTE_PGM_RSRC2:TIDIG_COMP_CNT: 0
; COMPUTE_PGM_RSRC3_GFX90A:ACCUM_OFFSET: 12
; COMPUTE_PGM_RSRC3_GFX90A:TG_SPLIT: 0
	.section	.text._ZN4vllm18act_and_mul_kernelIN3c108BFloat16ETnPFT_RKS3_EXadL_ZNS_11gelu_kernelIS2_EES3_S5_EELb1EEEvPS3_PS4_i,"axG",@progbits,_ZN4vllm18act_and_mul_kernelIN3c108BFloat16ETnPFT_RKS3_EXadL_ZNS_11gelu_kernelIS2_EES3_S5_EELb1EEEvPS3_PS4_i,comdat
	.protected	_ZN4vllm18act_and_mul_kernelIN3c108BFloat16ETnPFT_RKS3_EXadL_ZNS_11gelu_kernelIS2_EES3_S5_EELb1EEEvPS3_PS4_i ; -- Begin function _ZN4vllm18act_and_mul_kernelIN3c108BFloat16ETnPFT_RKS3_EXadL_ZNS_11gelu_kernelIS2_EES3_S5_EELb1EEEvPS3_PS4_i
	.globl	_ZN4vllm18act_and_mul_kernelIN3c108BFloat16ETnPFT_RKS3_EXadL_ZNS_11gelu_kernelIS2_EES3_S5_EELb1EEEvPS3_PS4_i
	.p2align	8
	.type	_ZN4vllm18act_and_mul_kernelIN3c108BFloat16ETnPFT_RKS3_EXadL_ZNS_11gelu_kernelIS2_EES3_S5_EELb1EEEvPS3_PS4_i,@function
_ZN4vllm18act_and_mul_kernelIN3c108BFloat16ETnPFT_RKS3_EXadL_ZNS_11gelu_kernelIS2_EES3_S5_EELb1EEEvPS3_PS4_i: ; @_ZN4vllm18act_and_mul_kernelIN3c108BFloat16ETnPFT_RKS3_EXadL_ZNS_11gelu_kernelIS2_EES3_S5_EELb1EEEvPS3_PS4_i
; %bb.0:
	s_load_dword s6, s[0:1], 0x10
	s_waitcnt lgkmcnt(0)
	v_cmp_gt_i32_e32 vcc, s6, v0
	s_and_saveexec_b64 s[4:5], vcc
	s_cbranch_execz .LBB8_12
; %bb.1:
	v_mov_b32_e32 v1, 0
	s_load_dwordx4 s[8:11], s[0:1], 0x0
	s_load_dword s4, s[0:1], 0x24
	s_ashr_i32 s7, s6, 31
	v_add_u32_e32 v2, 1, v0
	v_mov_b32_e32 v3, v1
	v_mov_b32_e32 v4, s7
	v_cmp_lt_i64_e32 vcc, s[6:7], v[2:3]
	s_mul_hi_u32 s3, s2, s6
	s_mul_i32 s0, s2, s7
	v_cndmask_b32_e64 v3, v4, 0, vcc
	v_mov_b32_e32 v4, s6
	s_add_i32 s15, s3, s0
	s_mul_i32 s14, s2, s6
	v_cndmask_b32_e32 v2, v4, v2, vcc
	s_lshl_b64 s[16:17], s[14:15], 2
	s_waitcnt lgkmcnt(0)
	s_and_b32 s12, s4, 0xffff
	v_sub_co_u32_e32 v2, vcc, v2, v0
	s_cmp_eq_u32 s12, 1
	s_nop 0
	v_subbrev_co_u32_e32 v3, vcc, 0, v3, vcc
	v_cmp_lt_u64_e32 vcc, 3, v[2:3]
	s_cselect_b64 s[0:1], -1, 0
	s_and_b64 s[4:5], vcc, s[0:1]
	s_mov_b64 s[0:1], -1
	s_and_saveexec_b64 s[18:19], s[4:5]
	s_cbranch_execz .LBB8_5
; %bb.2:
	s_lshl_b64 s[0:1], s[14:15], 1
	s_add_u32 s0, s8, s0
	s_mov_b32 s3, 0
	v_lshlrev_b64 v[10:11], 1, v[0:1]
	s_addc_u32 s1, s9, s1
	v_lshl_add_u64 v[6:7], s[0:1], 0, v[10:11]
	s_lshl_b64 s[0:1], s[2:3], 2
	s_or_b32 s0, s0, 2
	s_mul_i32 s2, s0, s7
	s_mul_hi_u32 s3, s0, s6
	s_add_i32 s2, s3, s2
	s_mul_i32 s1, s1, s6
	s_add_i32 s2, s2, s1
	s_mul_i32 s0, s0, s6
	s_add_u32 s0, s10, s0
	s_addc_u32 s1, s11, s2
	v_lshl_add_u64 v[8:9], s[0:1], 0, v[10:11]
	s_add_u32 s0, s10, s16
	s_addc_u32 s1, s11, s17
	v_lshl_add_u64 v[10:11], s[0:1], 0, v[10:11]
	s_mov_b32 s0, 0xb9c68948
	v_and_b32_e32 v4, -4, v2
	v_mov_b32_e32 v5, v3
	v_mov_b64_e32 v[12:13], s[0:1]
	s_mov_b32 s0, 0x3ba10414
	s_mov_b64 s[20:21], 0
	s_mov_b32 s22, 0x3f3504f3
	s_brev_b32 s13, -2
	s_mov_b32 s24, 0x378e98ab
	s_mov_b32 s26, 0x3b7cd369
	;; [unrolled: 1-line block ×9, first 2 shown]
	v_mov_b32_e32 v24, 0x7f800000
	s_mov_b32 s38, 0xba1345e1
	v_mov_b64_e32 v[14:15], s[0:1]
	s_mov_b32 s40, 0xbcdac9b8
	s_mov_b32 s42, 0x3de703be
	;; [unrolled: 1-line block ×4, first 2 shown]
	s_movk_i32 s29, 0x7fff
	v_mov_b32_e32 v25, 0x7fc00000
	v_mov_b32_e32 v26, 0x7fc0
	s_mov_b32 s31, 0x5040100
	v_mov_b64_e32 v[16:17], v[4:5]
.LBB8_3:                                ; =>This Inner Loop Header: Depth=1
	global_load_dwordx2 v[20:21], v[10:11], off
	global_load_dwordx2 v[18:19], v[8:9], off
	v_lshl_add_u64 v[16:17], v[16:17], 0, -4
	v_cmp_eq_u64_e32 vcc, 0, v[16:17]
	s_or_b64 s[20:21], vcc, s[20:21]
	v_lshl_add_u64 v[8:9], v[8:9], 0, 8
	v_lshl_add_u64 v[10:11], v[10:11], 0, 8
	s_waitcnt vmcnt(1)
	v_and_b32_e32 v29, 0xffff0000, v21
	v_and_b32_e32 v31, 0xffff0000, v20
	v_lshlrev_b32_e32 v28, 16, v21
	v_lshlrev_b32_e32 v30, 16, v20
	s_waitcnt vmcnt(0)
	v_and_b32_e32 v21, 0xffff0000, v19
	v_and_b32_e32 v23, 0xffff0000, v18
	v_lshlrev_b32_e32 v20, 16, v19
	v_lshlrev_b32_e32 v22, 16, v18
	v_pk_mul_f32 v[18:19], v[30:31], s[22:23] op_sel_hi:[1,0]
	v_pk_mul_f32 v[32:33], v[28:29], s[22:23] op_sel_hi:[1,0]
	v_and_b32_e32 v37, 0x7fffffff, v19
	v_and_b32_e32 v35, 0x7fffffff, v33
	;; [unrolled: 1-line block ×4, first 2 shown]
	v_pk_mul_f32 v[38:39], v[18:19], v[18:19]
	v_pk_mul_f32 v[40:41], v[32:33], v[32:33]
	v_pk_fma_f32 v[42:43], v[34:35], s[24:25], v[12:13] op_sel_hi:[1,0,0]
	v_pk_fma_f32 v[44:45], v[36:37], s[24:25], v[12:13] op_sel_hi:[1,0,0]
	;; [unrolled: 1-line block ×22, first 2 shown]
	v_pk_fma_f32 v[38:39], v[36:37], v[38:39], v[36:37]
	v_pk_fma_f32 v[40:41], v[34:35], v[40:41], v[34:35]
	;; [unrolled: 1-line block ×4, first 2 shown]
	v_mul_f32_e32 v27, 0xbfb8aa3b, v34
	v_mul_f32_e32 v42, 0xbfb8aa3b, v35
	v_mul_f32_e32 v43, 0xbfb8aa3b, v36
	v_mul_f32_e32 v44, 0xbfb8aa3b, v37
	v_fma_f32 v45, v34, s23, -v27
	v_rndne_f32_e32 v46, v27
	v_fma_f32 v47, v35, s23, -v42
	v_rndne_f32_e32 v48, v42
	;; [unrolled: 2-line block ×4, first 2 shown]
	v_fmac_f32_e32 v45, 0xb2a5705f, v34
	v_sub_f32_e32 v27, v27, v46
	v_fmac_f32_e32 v47, 0xb2a5705f, v35
	v_sub_f32_e32 v42, v42, v48
	;; [unrolled: 2-line block ×4, first 2 shown]
	v_add_f32_e32 v27, v27, v45
	v_add_f32_e32 v42, v42, v47
	;; [unrolled: 1-line block ×4, first 2 shown]
	v_cvt_i32_f32_e32 v46, v46
	v_cvt_i32_f32_e32 v48, v48
	v_cvt_i32_f32_e32 v50, v50
	v_cvt_i32_f32_e32 v52, v52
	v_exp_f32_e32 v27, v27
	v_exp_f32_e32 v42, v42
	;; [unrolled: 1-line block ×4, first 2 shown]
	v_ldexp_f32 v27, v27, v46
	v_ldexp_f32 v42, v42, v48
	v_cmp_nlt_f32_e32 vcc, s25, v35
	v_ldexp_f32 v43, v43, v50
	v_cmp_nlt_f32_e64 s[0:1], s25, v36
	v_ldexp_f32 v44, v44, v52
	v_cmp_nlt_f32_e64 s[2:3], s25, v37
	v_cmp_nlt_f32_e64 s[4:5], s25, v34
	v_cndmask_b32_e32 v42, 0, v42, vcc
	v_cmp_ngt_f32_e32 vcc, s27, v35
	v_cndmask_b32_e64 v27, 0, v27, s[4:5]
	v_cndmask_b32_e64 v35, 0, v43, s[0:1]
	v_cmp_ngt_f32_e64 s[0:1], s27, v36
	v_cndmask_b32_e64 v36, 0, v44, s[2:3]
	v_cmp_ngt_f32_e64 s[2:3], s27, v37
	v_cmp_ngt_f32_e64 s[4:5], s27, v34
	v_cndmask_b32_e32 v34, v24, v42, vcc
	v_cndmask_b32_e64 v35, v24, v35, s[0:1]
	v_cndmask_b32_e64 v27, v24, v27, s[4:5]
	;; [unrolled: 1-line block ×3, first 2 shown]
	v_sub_f32_e32 v36, 1.0, v36
	v_cmp_lt_f32_e64 vcc, |v19|, 1.0
	v_sub_f32_e32 v35, 1.0, v35
	v_cmp_lt_f32_e64 s[0:1], |v18|, 1.0
	v_sub_f32_e32 v34, 1.0, v34
	v_cmp_lt_f32_e64 s[2:3], |v33|, 1.0
	;; [unrolled: 2-line block ×3, first 2 shown]
	v_cndmask_b32_e64 v34, v34, v41, s[2:3]
	v_cndmask_b32_e64 v35, v35, v38, s[0:1]
	;; [unrolled: 1-line block ×3, first 2 shown]
	v_cndmask_b32_e32 v36, v36, v39, vcc
	v_bfi_b32 v19, s13, v36, v19
	v_bfi_b32 v18, s13, v35, v18
	;; [unrolled: 1-line block ×4, first 2 shown]
	v_pk_mul_f32 v[28:29], v[28:29], 0.5 op_sel_hi:[1,0]
	v_pk_mul_f32 v[30:31], v[30:31], 0.5 op_sel_hi:[1,0]
	v_pk_add_f32 v[32:33], v[32:33], 1.0 op_sel_hi:[1,0]
	v_pk_add_f32 v[18:19], v[18:19], 1.0 op_sel_hi:[1,0]
	v_pk_mul_f32 v[28:29], v[28:29], v[32:33]
	v_pk_mul_f32 v[18:19], v[30:31], v[18:19]
	v_bfe_u32 v31, v28, 16, 1
	v_bfe_u32 v27, v18, 16, 1
	v_bfe_u32 v30, v19, 16, 1
	v_bfe_u32 v32, v29, 16, 1
	v_add3_u32 v32, v29, v32, s29
	v_add3_u32 v31, v28, v31, s29
	;; [unrolled: 1-line block ×4, first 2 shown]
	v_and_b32_e32 v27, 0xffff0000, v27
	v_and_b32_e32 v30, 0xffff0000, v30
	;; [unrolled: 1-line block ×4, first 2 shown]
	v_cmp_o_f32_e32 vcc, v28, v28
	v_cmp_o_f32_e64 s[0:1], v19, v19
	v_cmp_o_f32_e64 s[2:3], v18, v18
	;; [unrolled: 1-line block ×3, first 2 shown]
	v_cndmask_b32_e32 v18, v25, v31, vcc
	v_cndmask_b32_e64 v29, v25, v30, s[0:1]
	v_cndmask_b32_e64 v19, v25, v32, s[4:5]
	;; [unrolled: 1-line block ×3, first 2 shown]
	v_pk_mul_f32 v[22:23], v[28:29], v[22:23]
	v_pk_mul_f32 v[18:19], v[18:19], v[20:21]
	v_bfe_u32 v20, v22, 16, 1
	v_bfe_u32 v21, v23, 16, 1
	;; [unrolled: 1-line block ×4, first 2 shown]
	v_add3_u32 v28, v19, v28, s29
	v_add3_u32 v27, v18, v27, s29
	;; [unrolled: 1-line block ×4, first 2 shown]
	v_lshrrev_b32_e32 v20, 16, v20
	v_lshrrev_b32_e32 v21, 16, v21
	v_lshrrev_b32_e32 v27, 16, v27
	v_lshrrev_b32_e32 v28, 16, v28
	v_cmp_o_f32_e32 vcc, v23, v23
	v_cmp_o_f32_e64 s[0:1], v18, v18
	v_cmp_o_f32_e64 s[2:3], v19, v19
	;; [unrolled: 1-line block ×3, first 2 shown]
	v_cndmask_b32_e32 v19, v26, v21, vcc
	v_cndmask_b32_e64 v21, v26, v28, s[2:3]
	v_cndmask_b32_e64 v18, v26, v20, s[4:5]
	;; [unrolled: 1-line block ×3, first 2 shown]
	v_perm_b32 v18, v19, v18, s31
	v_perm_b32 v19, v21, v20, s31
	global_store_dwordx2 v[6:7], v[18:19], off
	v_lshl_add_u64 v[6:7], v[6:7], 0, 8
	s_andn2_b64 exec, exec, s[20:21]
	s_cbranch_execnz .LBB8_3
; %bb.4:
	s_or_b64 exec, exec, s[20:21]
	v_cmp_ne_u64_e32 vcc, v[2:3], v[4:5]
	v_lshl_add_u64 v[0:1], v[4:5], 0, v[0:1]
	s_orn2_b64 s[0:1], vcc, exec
.LBB8_5:
	s_or_b64 exec, exec, s[18:19]
	s_and_b64 exec, exec, s[0:1]
	s_cbranch_execz .LBB8_12
; %bb.6:
	s_add_u32 s0, s10, s16
	s_addc_u32 s1, s11, s17
	s_lshl_b64 s[2:3], s[6:7], 1
	s_add_u32 s2, s0, s2
	s_addc_u32 s3, s1, s3
	s_lshl_b64 s[4:5], s[14:15], 1
	s_add_u32 s4, s8, s4
	s_mov_b32 s13, 0
                                        ; implicit-def: $vgpr5
                                        ; implicit-def: $vgpr5
	;; [unrolled: 1-line block ×4, first 2 shown]
	s_addc_u32 s5, s9, s5
	v_lshlrev_b64 v[2:3], 1, v[0:1]
	s_lshl_b32 s8, s12, 1
	s_mov_b32 s9, s13
	s_mov_b64 s[10:11], 0
	s_mov_b32 s16, 0x378e98ab
	s_mov_b32 s17, 0x3b7cd369
	;; [unrolled: 1-line block ×9, first 2 shown]
	v_mov_b32_e32 v4, 0x3ba10414
	s_brev_b32 s25, -2
	s_movk_i32 s26, 0x7fff
	v_mov_b32_e32 v5, 0x7fc00000
	v_mov_b32_e32 v6, 0x7fc0
	;; [unrolled: 1-line block ×4, first 2 shown]
	s_branch .LBB8_8
.LBB8_7:                                ;   in Loop: Header=BB8_8 Depth=1
	s_or_b64 exec, exec, s[14:15]
	v_bfi_b32 v11, s25, v12, v11
	v_mul_f32_e32 v10, 0.5, v10
	v_add_f32_e32 v11, 1.0, v11
	v_mul_f32_e32 v10, v10, v11
	v_bfe_u32 v11, v10, 16, 1
	v_add3_u32 v11, v10, v11, s26
	v_and_b32_e32 v11, 0xffff0000, v11
	v_cmp_o_f32_e32 vcc, v10, v10
	s_waitcnt vmcnt(0)
	v_lshlrev_b32_e32 v9, 16, v9
	v_lshl_add_u64 v[0:1], v[0:1], 0, s[12:13]
	v_cndmask_b32_e32 v10, v5, v11, vcc
	v_mul_f32_e32 v9, v10, v9
	v_bfe_u32 v10, v9, 16, 1
	v_add3_u32 v10, v9, v10, s26
	v_cmp_o_f32_e32 vcc, v9, v9
	s_nop 1
	v_cndmask_b32_sdwa v9, v6, v10, vcc dst_sel:DWORD dst_unused:UNUSED_PAD src0_sel:DWORD src1_sel:WORD_1
	v_cmp_le_i64_e32 vcc, s[6:7], v[0:1]
	v_lshl_add_u64 v[10:11], s[4:5], 0, v[2:3]
	s_or_b64 s[10:11], vcc, s[10:11]
	v_lshl_add_u64 v[2:3], v[2:3], 0, s[8:9]
	global_store_short v[10:11], v9, off
	s_andn2_b64 exec, exec, s[10:11]
	s_cbranch_execz .LBB8_12
.LBB8_8:                                ; =>This Inner Loop Header: Depth=1
	v_lshl_add_u64 v[10:11], s[0:1], 0, v[2:3]
	global_load_ushort v12, v[10:11], off
	v_lshl_add_u64 v[10:11], s[2:3], 0, v[2:3]
	global_load_ushort v9, v[10:11], off
	s_waitcnt vmcnt(1)
	v_lshlrev_b32_e32 v10, 16, v12
	v_mul_f32_e32 v11, 0x3f3504f3, v10
	v_cmp_nlt_f32_e64 s[14:15], |v11|, 1.0
                                        ; implicit-def: $vgpr12
	s_and_saveexec_b64 s[28:29], s[14:15]
	s_xor_b64 s[14:15], exec, s[28:29]
	s_cbranch_execz .LBB8_10
; %bb.9:                                ;   in Loop: Header=BB8_8 Depth=1
	v_fma_f32 v12, |v11|, s16, v7
	v_fma_f32 v12, |v11|, v12, s17
	;; [unrolled: 1-line block ×6, first 2 shown]
	v_fma_f32 v12, |v11|, v12, |v11|
	v_mul_f32_e32 v13, 0xbfb8aa3b, v12
	v_fma_f32 v14, v12, s22, -v13
	v_rndne_f32_e32 v15, v13
	v_fmac_f32_e32 v14, 0xb2a5705f, v12
	v_sub_f32_e32 v13, v13, v15
	v_add_f32_e32 v13, v13, v14
	v_cvt_i32_f32_e32 v14, v15
	v_exp_f32_e32 v13, v13
	v_cmp_nlt_f32_e32 vcc, s23, v12
	v_ldexp_f32 v13, v13, v14
	s_nop 0
	v_cndmask_b32_e32 v13, 0, v13, vcc
	v_cmp_ngt_f32_e32 vcc, s24, v12
	s_nop 1
	v_cndmask_b32_e32 v12, v8, v13, vcc
	v_sub_f32_e32 v12, 1.0, v12
.LBB8_10:                               ;   in Loop: Header=BB8_8 Depth=1
	s_andn2_saveexec_b64 s[14:15], s[14:15]
	s_cbranch_execz .LBB8_7
; %bb.11:                               ;   in Loop: Header=BB8_8 Depth=1
	v_mul_f32_e32 v12, v11, v11
	v_fmamk_f32 v13, v12, 0xba1345e1, v4
	v_fmaak_f32 v13, v12, v13, 0xbcdac9b8
	v_fmaak_f32 v13, v12, v13, 0x3de703be
	;; [unrolled: 1-line block ×4, first 2 shown]
	v_fma_f32 v12, |v11|, v12, |v11|
	s_branch .LBB8_7
.LBB8_12:
	s_endpgm
	.section	.rodata,"a",@progbits
	.p2align	6, 0x0
	.amdhsa_kernel _ZN4vllm18act_and_mul_kernelIN3c108BFloat16ETnPFT_RKS3_EXadL_ZNS_11gelu_kernelIS2_EES3_S5_EELb1EEEvPS3_PS4_i
		.amdhsa_group_segment_fixed_size 0
		.amdhsa_private_segment_fixed_size 0
		.amdhsa_kernarg_size 280
		.amdhsa_user_sgpr_count 2
		.amdhsa_user_sgpr_dispatch_ptr 0
		.amdhsa_user_sgpr_queue_ptr 0
		.amdhsa_user_sgpr_kernarg_segment_ptr 1
		.amdhsa_user_sgpr_dispatch_id 0
		.amdhsa_user_sgpr_kernarg_preload_length 0
		.amdhsa_user_sgpr_kernarg_preload_offset 0
		.amdhsa_user_sgpr_private_segment_size 0
		.amdhsa_uses_dynamic_stack 0
		.amdhsa_enable_private_segment 0
		.amdhsa_system_sgpr_workgroup_id_x 1
		.amdhsa_system_sgpr_workgroup_id_y 0
		.amdhsa_system_sgpr_workgroup_id_z 0
		.amdhsa_system_sgpr_workgroup_info 0
		.amdhsa_system_vgpr_workitem_id 0
		.amdhsa_next_free_vgpr 53
		.amdhsa_next_free_sgpr 48
		.amdhsa_accum_offset 56
		.amdhsa_reserve_vcc 1
		.amdhsa_float_round_mode_32 0
		.amdhsa_float_round_mode_16_64 0
		.amdhsa_float_denorm_mode_32 3
		.amdhsa_float_denorm_mode_16_64 3
		.amdhsa_dx10_clamp 1
		.amdhsa_ieee_mode 1
		.amdhsa_fp16_overflow 0
		.amdhsa_tg_split 0
		.amdhsa_exception_fp_ieee_invalid_op 0
		.amdhsa_exception_fp_denorm_src 0
		.amdhsa_exception_fp_ieee_div_zero 0
		.amdhsa_exception_fp_ieee_overflow 0
		.amdhsa_exception_fp_ieee_underflow 0
		.amdhsa_exception_fp_ieee_inexact 0
		.amdhsa_exception_int_div_zero 0
	.end_amdhsa_kernel
	.section	.text._ZN4vllm18act_and_mul_kernelIN3c108BFloat16ETnPFT_RKS3_EXadL_ZNS_11gelu_kernelIS2_EES3_S5_EELb1EEEvPS3_PS4_i,"axG",@progbits,_ZN4vllm18act_and_mul_kernelIN3c108BFloat16ETnPFT_RKS3_EXadL_ZNS_11gelu_kernelIS2_EES3_S5_EELb1EEEvPS3_PS4_i,comdat
.Lfunc_end8:
	.size	_ZN4vllm18act_and_mul_kernelIN3c108BFloat16ETnPFT_RKS3_EXadL_ZNS_11gelu_kernelIS2_EES3_S5_EELb1EEEvPS3_PS4_i, .Lfunc_end8-_ZN4vllm18act_and_mul_kernelIN3c108BFloat16ETnPFT_RKS3_EXadL_ZNS_11gelu_kernelIS2_EES3_S5_EELb1EEEvPS3_PS4_i
                                        ; -- End function
	.set _ZN4vllm18act_and_mul_kernelIN3c108BFloat16ETnPFT_RKS3_EXadL_ZNS_11gelu_kernelIS2_EES3_S5_EELb1EEEvPS3_PS4_i.num_vgpr, 53
	.set _ZN4vllm18act_and_mul_kernelIN3c108BFloat16ETnPFT_RKS3_EXadL_ZNS_11gelu_kernelIS2_EES3_S5_EELb1EEEvPS3_PS4_i.num_agpr, 0
	.set _ZN4vllm18act_and_mul_kernelIN3c108BFloat16ETnPFT_RKS3_EXadL_ZNS_11gelu_kernelIS2_EES3_S5_EELb1EEEvPS3_PS4_i.numbered_sgpr, 48
	.set _ZN4vllm18act_and_mul_kernelIN3c108BFloat16ETnPFT_RKS3_EXadL_ZNS_11gelu_kernelIS2_EES3_S5_EELb1EEEvPS3_PS4_i.num_named_barrier, 0
	.set _ZN4vllm18act_and_mul_kernelIN3c108BFloat16ETnPFT_RKS3_EXadL_ZNS_11gelu_kernelIS2_EES3_S5_EELb1EEEvPS3_PS4_i.private_seg_size, 0
	.set _ZN4vllm18act_and_mul_kernelIN3c108BFloat16ETnPFT_RKS3_EXadL_ZNS_11gelu_kernelIS2_EES3_S5_EELb1EEEvPS3_PS4_i.uses_vcc, 1
	.set _ZN4vllm18act_and_mul_kernelIN3c108BFloat16ETnPFT_RKS3_EXadL_ZNS_11gelu_kernelIS2_EES3_S5_EELb1EEEvPS3_PS4_i.uses_flat_scratch, 0
	.set _ZN4vllm18act_and_mul_kernelIN3c108BFloat16ETnPFT_RKS3_EXadL_ZNS_11gelu_kernelIS2_EES3_S5_EELb1EEEvPS3_PS4_i.has_dyn_sized_stack, 0
	.set _ZN4vllm18act_and_mul_kernelIN3c108BFloat16ETnPFT_RKS3_EXadL_ZNS_11gelu_kernelIS2_EES3_S5_EELb1EEEvPS3_PS4_i.has_recursion, 0
	.set _ZN4vllm18act_and_mul_kernelIN3c108BFloat16ETnPFT_RKS3_EXadL_ZNS_11gelu_kernelIS2_EES3_S5_EELb1EEEvPS3_PS4_i.has_indirect_call, 0
	.section	.AMDGPU.csdata,"",@progbits
; Kernel info:
; codeLenInByte = 2276
; TotalNumSgprs: 54
; NumVgprs: 53
; NumAgprs: 0
; TotalNumVgprs: 53
; ScratchSize: 0
; MemoryBound: 0
; FloatMode: 240
; IeeeMode: 1
; LDSByteSize: 0 bytes/workgroup (compile time only)
; SGPRBlocks: 6
; VGPRBlocks: 6
; NumSGPRsForWavesPerEU: 54
; NumVGPRsForWavesPerEU: 53
; AccumOffset: 56
; Occupancy: 8
; WaveLimiterHint : 0
; COMPUTE_PGM_RSRC2:SCRATCH_EN: 0
; COMPUTE_PGM_RSRC2:USER_SGPR: 2
; COMPUTE_PGM_RSRC2:TRAP_HANDLER: 0
; COMPUTE_PGM_RSRC2:TGID_X_EN: 1
; COMPUTE_PGM_RSRC2:TGID_Y_EN: 0
; COMPUTE_PGM_RSRC2:TGID_Z_EN: 0
; COMPUTE_PGM_RSRC2:TIDIG_COMP_CNT: 0
; COMPUTE_PGM_RSRC3_GFX90A:ACCUM_OFFSET: 13
; COMPUTE_PGM_RSRC3_GFX90A:TG_SPLIT: 0
	.section	.text._ZN4vllm18act_and_mul_kernelIfTnPFT_RKS1_EXadL_ZNS_16gelu_tanh_kernelIfEES1_S3_EELb1EEEvPS1_PS2_i,"axG",@progbits,_ZN4vllm18act_and_mul_kernelIfTnPFT_RKS1_EXadL_ZNS_16gelu_tanh_kernelIfEES1_S3_EELb1EEEvPS1_PS2_i,comdat
	.protected	_ZN4vllm18act_and_mul_kernelIfTnPFT_RKS1_EXadL_ZNS_16gelu_tanh_kernelIfEES1_S3_EELb1EEEvPS1_PS2_i ; -- Begin function _ZN4vllm18act_and_mul_kernelIfTnPFT_RKS1_EXadL_ZNS_16gelu_tanh_kernelIfEES1_S3_EELb1EEEvPS1_PS2_i
	.globl	_ZN4vllm18act_and_mul_kernelIfTnPFT_RKS1_EXadL_ZNS_16gelu_tanh_kernelIfEES1_S3_EELb1EEEvPS1_PS2_i
	.p2align	8
	.type	_ZN4vllm18act_and_mul_kernelIfTnPFT_RKS1_EXadL_ZNS_16gelu_tanh_kernelIfEES1_S3_EELb1EEEvPS1_PS2_i,@function
_ZN4vllm18act_and_mul_kernelIfTnPFT_RKS1_EXadL_ZNS_16gelu_tanh_kernelIfEES1_S3_EELb1EEEvPS1_PS2_i: ; @_ZN4vllm18act_and_mul_kernelIfTnPFT_RKS1_EXadL_ZNS_16gelu_tanh_kernelIfEES1_S3_EELb1EEEvPS1_PS2_i
; %bb.0:
	s_load_dword s4, s[0:1], 0x10
	s_waitcnt lgkmcnt(0)
	v_cmp_gt_i32_e32 vcc, s4, v0
	s_and_saveexec_b64 s[6:7], vcc
	s_cbranch_execz .LBB9_7
; %bb.1:
	s_load_dwordx4 s[8:11], s[0:1], 0x0
	s_ashr_i32 s5, s4, 31
	s_mul_hi_u32 s6, s2, s4
	s_mul_i32 s7, s2, s5
	s_add_i32 s13, s6, s7
	s_mul_i32 s12, s2, s4
	s_lshl_b64 s[6:7], s[12:13], 3
	s_load_dword s2, s[0:1], 0x24
	s_waitcnt lgkmcnt(0)
	s_add_u32 s0, s10, s6
	s_addc_u32 s1, s11, s7
	s_lshl_b64 s[6:7], s[4:5], 2
	s_add_u32 s6, s0, s6
	s_addc_u32 s7, s1, s7
	s_lshl_b64 s[10:11], s[12:13], 2
	s_add_u32 s8, s8, s10
	s_mov_b32 s3, 0
	v_mov_b32_e32 v1, 0
	s_addc_u32 s9, s9, s11
	s_and_b32 s2, s2, 0xffff
                                        ; implicit-def: $vgpr5
                                        ; implicit-def: $vgpr5
                                        ; implicit-def: $vgpr5
	v_lshlrev_b32_e32 v2, 2, v0
	v_mov_b32_e32 v3, v1
	s_lshl_b32 s10, s2, 2
	s_mov_b32 s11, s3
	s_mov_b64 s[12:13], 0
	s_mov_b32 s16, 0x3f200000
	s_mov_b32 s17, 0x3fb8aa3b
	;; [unrolled: 1-line block ×4, first 2 shown]
	v_mov_b32_e32 v4, 0x3ca908c9
	s_brev_b32 s20, -2
	v_mov_b32_e32 v5, 0x7f800000
	s_branch .LBB9_3
.LBB9_2:                                ;   in Loop: Header=BB9_3 Depth=1
	s_or_b64 exec, exec, s[14:15]
	v_bfi_b32 v8, s20, v9, v8
	v_mul_f32_e32 v7, 0.5, v7
	v_add_f32_e32 v8, 1.0, v8
	v_lshl_add_u64 v[0:1], v[0:1], 0, s[2:3]
	v_mul_f32_e32 v7, v7, v8
	v_cmp_le_i64_e32 vcc, s[4:5], v[0:1]
	s_waitcnt vmcnt(0)
	v_mul_f32_e32 v8, v6, v7
	v_lshl_add_u64 v[6:7], s[8:9], 0, v[2:3]
	s_or_b64 s[12:13], vcc, s[12:13]
	v_lshl_add_u64 v[2:3], v[2:3], 0, s[10:11]
	global_store_dword v[6:7], v8, off
	s_andn2_b64 exec, exec, s[12:13]
	s_cbranch_execz .LBB9_7
.LBB9_3:                                ; =>This Inner Loop Header: Depth=1
	v_lshl_add_u64 v[6:7], s[0:1], 0, v[2:3]
	global_load_dword v7, v[6:7], off
	v_lshl_add_u64 v[8:9], s[6:7], 0, v[2:3]
	global_load_dword v6, v[8:9], off
                                        ; implicit-def: $vgpr9
	s_waitcnt vmcnt(1)
	v_mul_f32_e32 v8, v7, v7
	v_mul_f32_e32 v8, v7, v8
	v_fmamk_f32 v8, v8, 0x3d372713, v7
	v_mul_f32_e32 v8, 0x3f4c422a, v8
	v_cmp_nlt_f32_e64 s[14:15], |v8|, s16
	s_and_saveexec_b64 s[22:23], s[14:15]
	s_xor_b64 s[14:15], exec, s[22:23]
	s_cbranch_execz .LBB9_5
; %bb.4:                                ;   in Loop: Header=BB9_3 Depth=1
	v_add_f32_e64 v9, |v8|, |v8|
	v_mul_f32_e32 v10, 0x3fb8aa3b, v9
	v_rndne_f32_e32 v11, v10
	v_sub_f32_e32 v12, v10, v11
	v_fma_f32 v10, v9, s17, -v10
	v_fmac_f32_e32 v10, 0x32a5705f, v9
	v_add_f32_e32 v10, v12, v10
	v_cvt_i32_f32_e32 v11, v11
	v_exp_f32_e32 v10, v10
	v_cmp_ngt_f32_e32 vcc, s18, v9
	v_ldexp_f32 v10, v10, v11
	s_nop 0
	v_cndmask_b32_e32 v10, 0, v10, vcc
	v_cmp_nlt_f32_e32 vcc, s19, v9
	s_nop 1
	v_cndmask_b32_e32 v9, v5, v10, vcc
	v_add_f32_e32 v9, 1.0, v9
	v_rcp_f32_e32 v9, v9
	s_nop 0
	v_fma_f32 v9, v9, -2.0, 1.0
.LBB9_5:                                ;   in Loop: Header=BB9_3 Depth=1
	s_andn2_saveexec_b64 s[14:15], s[14:15]
	s_cbranch_execz .LBB9_2
; %bb.6:                                ;   in Loop: Header=BB9_3 Depth=1
	v_mul_f32_e32 v9, v8, v8
	v_fmamk_f32 v10, v9, 0xbbbac73d, v4
	v_fmaak_f32 v10, v9, v10, 0xbd5c1c4e
	v_fmaak_f32 v10, v9, v10, 0x3e088382
	v_fmaak_f32 v10, v9, v10, 0xbeaaaa99
	v_mul_f32_e64 v10, |v8|, v10
	v_fma_f32 v9, v9, v10, |v8|
	s_branch .LBB9_2
.LBB9_7:
	s_endpgm
	.section	.rodata,"a",@progbits
	.p2align	6, 0x0
	.amdhsa_kernel _ZN4vllm18act_and_mul_kernelIfTnPFT_RKS1_EXadL_ZNS_16gelu_tanh_kernelIfEES1_S3_EELb1EEEvPS1_PS2_i
		.amdhsa_group_segment_fixed_size 0
		.amdhsa_private_segment_fixed_size 0
		.amdhsa_kernarg_size 280
		.amdhsa_user_sgpr_count 2
		.amdhsa_user_sgpr_dispatch_ptr 0
		.amdhsa_user_sgpr_queue_ptr 0
		.amdhsa_user_sgpr_kernarg_segment_ptr 1
		.amdhsa_user_sgpr_dispatch_id 0
		.amdhsa_user_sgpr_kernarg_preload_length 0
		.amdhsa_user_sgpr_kernarg_preload_offset 0
		.amdhsa_user_sgpr_private_segment_size 0
		.amdhsa_uses_dynamic_stack 0
		.amdhsa_enable_private_segment 0
		.amdhsa_system_sgpr_workgroup_id_x 1
		.amdhsa_system_sgpr_workgroup_id_y 0
		.amdhsa_system_sgpr_workgroup_id_z 0
		.amdhsa_system_sgpr_workgroup_info 0
		.amdhsa_system_vgpr_workitem_id 0
		.amdhsa_next_free_vgpr 13
		.amdhsa_next_free_sgpr 24
		.amdhsa_accum_offset 16
		.amdhsa_reserve_vcc 1
		.amdhsa_float_round_mode_32 0
		.amdhsa_float_round_mode_16_64 0
		.amdhsa_float_denorm_mode_32 3
		.amdhsa_float_denorm_mode_16_64 3
		.amdhsa_dx10_clamp 1
		.amdhsa_ieee_mode 1
		.amdhsa_fp16_overflow 0
		.amdhsa_tg_split 0
		.amdhsa_exception_fp_ieee_invalid_op 0
		.amdhsa_exception_fp_denorm_src 0
		.amdhsa_exception_fp_ieee_div_zero 0
		.amdhsa_exception_fp_ieee_overflow 0
		.amdhsa_exception_fp_ieee_underflow 0
		.amdhsa_exception_fp_ieee_inexact 0
		.amdhsa_exception_int_div_zero 0
	.end_amdhsa_kernel
	.section	.text._ZN4vllm18act_and_mul_kernelIfTnPFT_RKS1_EXadL_ZNS_16gelu_tanh_kernelIfEES1_S3_EELb1EEEvPS1_PS2_i,"axG",@progbits,_ZN4vllm18act_and_mul_kernelIfTnPFT_RKS1_EXadL_ZNS_16gelu_tanh_kernelIfEES1_S3_EELb1EEEvPS1_PS2_i,comdat
.Lfunc_end9:
	.size	_ZN4vllm18act_and_mul_kernelIfTnPFT_RKS1_EXadL_ZNS_16gelu_tanh_kernelIfEES1_S3_EELb1EEEvPS1_PS2_i, .Lfunc_end9-_ZN4vllm18act_and_mul_kernelIfTnPFT_RKS1_EXadL_ZNS_16gelu_tanh_kernelIfEES1_S3_EELb1EEEvPS1_PS2_i
                                        ; -- End function
	.set _ZN4vllm18act_and_mul_kernelIfTnPFT_RKS1_EXadL_ZNS_16gelu_tanh_kernelIfEES1_S3_EELb1EEEvPS1_PS2_i.num_vgpr, 13
	.set _ZN4vllm18act_and_mul_kernelIfTnPFT_RKS1_EXadL_ZNS_16gelu_tanh_kernelIfEES1_S3_EELb1EEEvPS1_PS2_i.num_agpr, 0
	.set _ZN4vllm18act_and_mul_kernelIfTnPFT_RKS1_EXadL_ZNS_16gelu_tanh_kernelIfEES1_S3_EELb1EEEvPS1_PS2_i.numbered_sgpr, 24
	.set _ZN4vllm18act_and_mul_kernelIfTnPFT_RKS1_EXadL_ZNS_16gelu_tanh_kernelIfEES1_S3_EELb1EEEvPS1_PS2_i.num_named_barrier, 0
	.set _ZN4vllm18act_and_mul_kernelIfTnPFT_RKS1_EXadL_ZNS_16gelu_tanh_kernelIfEES1_S3_EELb1EEEvPS1_PS2_i.private_seg_size, 0
	.set _ZN4vllm18act_and_mul_kernelIfTnPFT_RKS1_EXadL_ZNS_16gelu_tanh_kernelIfEES1_S3_EELb1EEEvPS1_PS2_i.uses_vcc, 1
	.set _ZN4vllm18act_and_mul_kernelIfTnPFT_RKS1_EXadL_ZNS_16gelu_tanh_kernelIfEES1_S3_EELb1EEEvPS1_PS2_i.uses_flat_scratch, 0
	.set _ZN4vllm18act_and_mul_kernelIfTnPFT_RKS1_EXadL_ZNS_16gelu_tanh_kernelIfEES1_S3_EELb1EEEvPS1_PS2_i.has_dyn_sized_stack, 0
	.set _ZN4vllm18act_and_mul_kernelIfTnPFT_RKS1_EXadL_ZNS_16gelu_tanh_kernelIfEES1_S3_EELb1EEEvPS1_PS2_i.has_recursion, 0
	.set _ZN4vllm18act_and_mul_kernelIfTnPFT_RKS1_EXadL_ZNS_16gelu_tanh_kernelIfEES1_S3_EELb1EEEvPS1_PS2_i.has_indirect_call, 0
	.section	.AMDGPU.csdata,"",@progbits
; Kernel info:
; codeLenInByte = 524
; TotalNumSgprs: 30
; NumVgprs: 13
; NumAgprs: 0
; TotalNumVgprs: 13
; ScratchSize: 0
; MemoryBound: 0
; FloatMode: 240
; IeeeMode: 1
; LDSByteSize: 0 bytes/workgroup (compile time only)
; SGPRBlocks: 3
; VGPRBlocks: 1
; NumSGPRsForWavesPerEU: 30
; NumVGPRsForWavesPerEU: 13
; AccumOffset: 16
; Occupancy: 8
; WaveLimiterHint : 0
; COMPUTE_PGM_RSRC2:SCRATCH_EN: 0
; COMPUTE_PGM_RSRC2:USER_SGPR: 2
; COMPUTE_PGM_RSRC2:TRAP_HANDLER: 0
; COMPUTE_PGM_RSRC2:TGID_X_EN: 1
; COMPUTE_PGM_RSRC2:TGID_Y_EN: 0
; COMPUTE_PGM_RSRC2:TGID_Z_EN: 0
; COMPUTE_PGM_RSRC2:TIDIG_COMP_CNT: 0
; COMPUTE_PGM_RSRC3_GFX90A:ACCUM_OFFSET: 3
; COMPUTE_PGM_RSRC3_GFX90A:TG_SPLIT: 0
	.section	.text._ZN4vllm18act_and_mul_kernelIN3c104HalfETnPFT_RKS3_EXadL_ZNS_16gelu_tanh_kernelIS2_EES3_S5_EELb1EEEvPS3_PS4_i,"axG",@progbits,_ZN4vllm18act_and_mul_kernelIN3c104HalfETnPFT_RKS3_EXadL_ZNS_16gelu_tanh_kernelIS2_EES3_S5_EELb1EEEvPS3_PS4_i,comdat
	.protected	_ZN4vllm18act_and_mul_kernelIN3c104HalfETnPFT_RKS3_EXadL_ZNS_16gelu_tanh_kernelIS2_EES3_S5_EELb1EEEvPS3_PS4_i ; -- Begin function _ZN4vllm18act_and_mul_kernelIN3c104HalfETnPFT_RKS3_EXadL_ZNS_16gelu_tanh_kernelIS2_EES3_S5_EELb1EEEvPS3_PS4_i
	.globl	_ZN4vllm18act_and_mul_kernelIN3c104HalfETnPFT_RKS3_EXadL_ZNS_16gelu_tanh_kernelIS2_EES3_S5_EELb1EEEvPS3_PS4_i
	.p2align	8
	.type	_ZN4vllm18act_and_mul_kernelIN3c104HalfETnPFT_RKS3_EXadL_ZNS_16gelu_tanh_kernelIS2_EES3_S5_EELb1EEEvPS3_PS4_i,@function
_ZN4vllm18act_and_mul_kernelIN3c104HalfETnPFT_RKS3_EXadL_ZNS_16gelu_tanh_kernelIS2_EES3_S5_EELb1EEEvPS3_PS4_i: ; @_ZN4vllm18act_and_mul_kernelIN3c104HalfETnPFT_RKS3_EXadL_ZNS_16gelu_tanh_kernelIS2_EES3_S5_EELb1EEEvPS3_PS4_i
; %bb.0:
	s_load_dword s4, s[0:1], 0x10
	s_waitcnt lgkmcnt(0)
	v_cmp_gt_i32_e32 vcc, s4, v0
	s_and_saveexec_b64 s[6:7], vcc
	s_cbranch_execz .LBB10_7
; %bb.1:
	s_load_dwordx4 s[8:11], s[0:1], 0x0
	s_ashr_i32 s5, s4, 31
	s_mul_hi_u32 s6, s2, s4
	s_mul_i32 s7, s2, s5
	s_add_i32 s13, s6, s7
	s_mul_i32 s12, s2, s4
	s_lshl_b64 s[6:7], s[12:13], 2
	s_load_dword s2, s[0:1], 0x24
	s_waitcnt lgkmcnt(0)
	s_add_u32 s0, s10, s6
	s_addc_u32 s1, s11, s7
	s_lshl_b64 s[6:7], s[4:5], 1
	s_add_u32 s6, s0, s6
	s_addc_u32 s7, s1, s7
	s_lshl_b64 s[10:11], s[12:13], 1
	s_add_u32 s8, s8, s10
	s_mov_b32 s3, 0
	v_mov_b32_e32 v1, 0
	s_addc_u32 s9, s9, s11
	s_and_b32 s2, s2, 0xffff
                                        ; implicit-def: $vgpr5
                                        ; implicit-def: $vgpr5
	;; [unrolled: 1-line block ×3, first 2 shown]
	v_lshlrev_b32_e32 v2, 1, v0
	v_mov_b32_e32 v3, v1
	s_lshl_b32 s10, s2, 1
	s_mov_b32 s11, s3
	s_mov_b64 s[12:13], 0
	s_mov_b32 s16, 0x3d372713
	s_mov_b32 s17, 0x3f200000
	;; [unrolled: 1-line block ×5, first 2 shown]
	v_mov_b32_e32 v4, 0x3ca908c9
	s_brev_b32 s21, -2
	v_mov_b32_e32 v5, 0x7f800000
	s_branch .LBB10_3
.LBB10_2:                               ;   in Loop: Header=BB10_3 Depth=1
	s_or_b64 exec, exec, s[14:15]
	v_bfi_b32 v8, s21, v9, v8
	v_mul_f32_e32 v7, 0.5, v7
	v_add_f32_e32 v8, 1.0, v8
	v_lshl_add_u64 v[0:1], v[0:1], 0, s[2:3]
	v_fma_mixlo_f16 v7, v7, v8, 0
	v_cmp_le_i64_e32 vcc, s[4:5], v[0:1]
	s_waitcnt vmcnt(0)
	v_mul_f16_e32 v8, v6, v7
	v_lshl_add_u64 v[6:7], s[8:9], 0, v[2:3]
	s_or_b64 s[12:13], vcc, s[12:13]
	v_lshl_add_u64 v[2:3], v[2:3], 0, s[10:11]
	global_store_short v[6:7], v8, off
	s_andn2_b64 exec, exec, s[12:13]
	s_cbranch_execz .LBB10_7
.LBB10_3:                               ; =>This Inner Loop Header: Depth=1
	v_lshl_add_u64 v[6:7], s[0:1], 0, v[2:3]
	global_load_ushort v8, v[6:7], off
	v_lshl_add_u64 v[6:7], s[6:7], 0, v[2:3]
	global_load_ushort v6, v[6:7], off
	s_waitcnt vmcnt(1)
	v_cvt_f32_f16_e32 v7, v8
	v_mul_f32_e32 v9, v7, v7
	v_mul_f32_e32 v9, v9, v7
	v_fma_mix_f32 v8, v9, s16, v8 op_sel_hi:[0,0,1]
	v_mul_f32_e32 v8, 0x3f4c422a, v8
	v_cmp_nlt_f32_e64 s[14:15], |v8|, s17
                                        ; implicit-def: $vgpr9
	s_and_saveexec_b64 s[22:23], s[14:15]
	s_xor_b64 s[14:15], exec, s[22:23]
	s_cbranch_execz .LBB10_5
; %bb.4:                                ;   in Loop: Header=BB10_3 Depth=1
	v_add_f32_e64 v9, |v8|, |v8|
	v_mul_f32_e32 v10, 0x3fb8aa3b, v9
	v_rndne_f32_e32 v11, v10
	v_sub_f32_e32 v12, v10, v11
	v_fma_f32 v10, v9, s18, -v10
	v_fmac_f32_e32 v10, 0x32a5705f, v9
	v_add_f32_e32 v10, v12, v10
	v_cvt_i32_f32_e32 v11, v11
	v_exp_f32_e32 v10, v10
	v_cmp_ngt_f32_e32 vcc, s19, v9
	v_ldexp_f32 v10, v10, v11
	s_nop 0
	v_cndmask_b32_e32 v10, 0, v10, vcc
	v_cmp_nlt_f32_e32 vcc, s20, v9
	s_nop 1
	v_cndmask_b32_e32 v9, v5, v10, vcc
	v_add_f32_e32 v9, 1.0, v9
	v_rcp_f32_e32 v9, v9
	s_nop 0
	v_fma_f32 v9, v9, -2.0, 1.0
.LBB10_5:                               ;   in Loop: Header=BB10_3 Depth=1
	s_andn2_saveexec_b64 s[14:15], s[14:15]
	s_cbranch_execz .LBB10_2
; %bb.6:                                ;   in Loop: Header=BB10_3 Depth=1
	v_mul_f32_e32 v9, v8, v8
	v_fmamk_f32 v10, v9, 0xbbbac73d, v4
	v_fmaak_f32 v10, v9, v10, 0xbd5c1c4e
	v_fmaak_f32 v10, v9, v10, 0x3e088382
	;; [unrolled: 1-line block ×3, first 2 shown]
	v_mul_f32_e64 v10, |v8|, v10
	v_fma_f32 v9, v9, v10, |v8|
	s_branch .LBB10_2
.LBB10_7:
	s_endpgm
	.section	.rodata,"a",@progbits
	.p2align	6, 0x0
	.amdhsa_kernel _ZN4vllm18act_and_mul_kernelIN3c104HalfETnPFT_RKS3_EXadL_ZNS_16gelu_tanh_kernelIS2_EES3_S5_EELb1EEEvPS3_PS4_i
		.amdhsa_group_segment_fixed_size 0
		.amdhsa_private_segment_fixed_size 0
		.amdhsa_kernarg_size 280
		.amdhsa_user_sgpr_count 2
		.amdhsa_user_sgpr_dispatch_ptr 0
		.amdhsa_user_sgpr_queue_ptr 0
		.amdhsa_user_sgpr_kernarg_segment_ptr 1
		.amdhsa_user_sgpr_dispatch_id 0
		.amdhsa_user_sgpr_kernarg_preload_length 0
		.amdhsa_user_sgpr_kernarg_preload_offset 0
		.amdhsa_user_sgpr_private_segment_size 0
		.amdhsa_uses_dynamic_stack 0
		.amdhsa_enable_private_segment 0
		.amdhsa_system_sgpr_workgroup_id_x 1
		.amdhsa_system_sgpr_workgroup_id_y 0
		.amdhsa_system_sgpr_workgroup_id_z 0
		.amdhsa_system_sgpr_workgroup_info 0
		.amdhsa_system_vgpr_workitem_id 0
		.amdhsa_next_free_vgpr 13
		.amdhsa_next_free_sgpr 24
		.amdhsa_accum_offset 16
		.amdhsa_reserve_vcc 1
		.amdhsa_float_round_mode_32 0
		.amdhsa_float_round_mode_16_64 0
		.amdhsa_float_denorm_mode_32 3
		.amdhsa_float_denorm_mode_16_64 3
		.amdhsa_dx10_clamp 1
		.amdhsa_ieee_mode 1
		.amdhsa_fp16_overflow 0
		.amdhsa_tg_split 0
		.amdhsa_exception_fp_ieee_invalid_op 0
		.amdhsa_exception_fp_denorm_src 0
		.amdhsa_exception_fp_ieee_div_zero 0
		.amdhsa_exception_fp_ieee_overflow 0
		.amdhsa_exception_fp_ieee_underflow 0
		.amdhsa_exception_fp_ieee_inexact 0
		.amdhsa_exception_int_div_zero 0
	.end_amdhsa_kernel
	.section	.text._ZN4vllm18act_and_mul_kernelIN3c104HalfETnPFT_RKS3_EXadL_ZNS_16gelu_tanh_kernelIS2_EES3_S5_EELb1EEEvPS3_PS4_i,"axG",@progbits,_ZN4vllm18act_and_mul_kernelIN3c104HalfETnPFT_RKS3_EXadL_ZNS_16gelu_tanh_kernelIS2_EES3_S5_EELb1EEEvPS3_PS4_i,comdat
.Lfunc_end10:
	.size	_ZN4vllm18act_and_mul_kernelIN3c104HalfETnPFT_RKS3_EXadL_ZNS_16gelu_tanh_kernelIS2_EES3_S5_EELb1EEEvPS3_PS4_i, .Lfunc_end10-_ZN4vllm18act_and_mul_kernelIN3c104HalfETnPFT_RKS3_EXadL_ZNS_16gelu_tanh_kernelIS2_EES3_S5_EELb1EEEvPS3_PS4_i
                                        ; -- End function
	.set _ZN4vllm18act_and_mul_kernelIN3c104HalfETnPFT_RKS3_EXadL_ZNS_16gelu_tanh_kernelIS2_EES3_S5_EELb1EEEvPS3_PS4_i.num_vgpr, 13
	.set _ZN4vllm18act_and_mul_kernelIN3c104HalfETnPFT_RKS3_EXadL_ZNS_16gelu_tanh_kernelIS2_EES3_S5_EELb1EEEvPS3_PS4_i.num_agpr, 0
	.set _ZN4vllm18act_and_mul_kernelIN3c104HalfETnPFT_RKS3_EXadL_ZNS_16gelu_tanh_kernelIS2_EES3_S5_EELb1EEEvPS3_PS4_i.numbered_sgpr, 24
	.set _ZN4vllm18act_and_mul_kernelIN3c104HalfETnPFT_RKS3_EXadL_ZNS_16gelu_tanh_kernelIS2_EES3_S5_EELb1EEEvPS3_PS4_i.num_named_barrier, 0
	.set _ZN4vllm18act_and_mul_kernelIN3c104HalfETnPFT_RKS3_EXadL_ZNS_16gelu_tanh_kernelIS2_EES3_S5_EELb1EEEvPS3_PS4_i.private_seg_size, 0
	.set _ZN4vllm18act_and_mul_kernelIN3c104HalfETnPFT_RKS3_EXadL_ZNS_16gelu_tanh_kernelIS2_EES3_S5_EELb1EEEvPS3_PS4_i.uses_vcc, 1
	.set _ZN4vllm18act_and_mul_kernelIN3c104HalfETnPFT_RKS3_EXadL_ZNS_16gelu_tanh_kernelIS2_EES3_S5_EELb1EEEvPS3_PS4_i.uses_flat_scratch, 0
	.set _ZN4vllm18act_and_mul_kernelIN3c104HalfETnPFT_RKS3_EXadL_ZNS_16gelu_tanh_kernelIS2_EES3_S5_EELb1EEEvPS3_PS4_i.has_dyn_sized_stack, 0
	.set _ZN4vllm18act_and_mul_kernelIN3c104HalfETnPFT_RKS3_EXadL_ZNS_16gelu_tanh_kernelIS2_EES3_S5_EELb1EEEvPS3_PS4_i.has_recursion, 0
	.set _ZN4vllm18act_and_mul_kernelIN3c104HalfETnPFT_RKS3_EXadL_ZNS_16gelu_tanh_kernelIS2_EES3_S5_EELb1EEEvPS3_PS4_i.has_indirect_call, 0
	.section	.AMDGPU.csdata,"",@progbits
; Kernel info:
; codeLenInByte = 540
; TotalNumSgprs: 30
; NumVgprs: 13
; NumAgprs: 0
; TotalNumVgprs: 13
; ScratchSize: 0
; MemoryBound: 0
; FloatMode: 240
; IeeeMode: 1
; LDSByteSize: 0 bytes/workgroup (compile time only)
; SGPRBlocks: 3
; VGPRBlocks: 1
; NumSGPRsForWavesPerEU: 30
; NumVGPRsForWavesPerEU: 13
; AccumOffset: 16
; Occupancy: 8
; WaveLimiterHint : 0
; COMPUTE_PGM_RSRC2:SCRATCH_EN: 0
; COMPUTE_PGM_RSRC2:USER_SGPR: 2
; COMPUTE_PGM_RSRC2:TRAP_HANDLER: 0
; COMPUTE_PGM_RSRC2:TGID_X_EN: 1
; COMPUTE_PGM_RSRC2:TGID_Y_EN: 0
; COMPUTE_PGM_RSRC2:TGID_Z_EN: 0
; COMPUTE_PGM_RSRC2:TIDIG_COMP_CNT: 0
; COMPUTE_PGM_RSRC3_GFX90A:ACCUM_OFFSET: 3
; COMPUTE_PGM_RSRC3_GFX90A:TG_SPLIT: 0
	.section	.text._ZN4vllm18act_and_mul_kernelIN3c108BFloat16ETnPFT_RKS3_EXadL_ZNS_16gelu_tanh_kernelIS2_EES3_S5_EELb1EEEvPS3_PS4_i,"axG",@progbits,_ZN4vllm18act_and_mul_kernelIN3c108BFloat16ETnPFT_RKS3_EXadL_ZNS_16gelu_tanh_kernelIS2_EES3_S5_EELb1EEEvPS3_PS4_i,comdat
	.protected	_ZN4vllm18act_and_mul_kernelIN3c108BFloat16ETnPFT_RKS3_EXadL_ZNS_16gelu_tanh_kernelIS2_EES3_S5_EELb1EEEvPS3_PS4_i ; -- Begin function _ZN4vllm18act_and_mul_kernelIN3c108BFloat16ETnPFT_RKS3_EXadL_ZNS_16gelu_tanh_kernelIS2_EES3_S5_EELb1EEEvPS3_PS4_i
	.globl	_ZN4vllm18act_and_mul_kernelIN3c108BFloat16ETnPFT_RKS3_EXadL_ZNS_16gelu_tanh_kernelIS2_EES3_S5_EELb1EEEvPS3_PS4_i
	.p2align	8
	.type	_ZN4vllm18act_and_mul_kernelIN3c108BFloat16ETnPFT_RKS3_EXadL_ZNS_16gelu_tanh_kernelIS2_EES3_S5_EELb1EEEvPS3_PS4_i,@function
_ZN4vllm18act_and_mul_kernelIN3c108BFloat16ETnPFT_RKS3_EXadL_ZNS_16gelu_tanh_kernelIS2_EES3_S5_EELb1EEEvPS3_PS4_i: ; @_ZN4vllm18act_and_mul_kernelIN3c108BFloat16ETnPFT_RKS3_EXadL_ZNS_16gelu_tanh_kernelIS2_EES3_S5_EELb1EEEvPS3_PS4_i
; %bb.0:
	s_load_dword s4, s[0:1], 0x10
	s_waitcnt lgkmcnt(0)
	v_cmp_gt_i32_e32 vcc, s4, v0
	s_and_saveexec_b64 s[6:7], vcc
	s_cbranch_execz .LBB11_7
; %bb.1:
	s_load_dwordx4 s[8:11], s[0:1], 0x0
	s_ashr_i32 s5, s4, 31
	s_mul_hi_u32 s6, s2, s4
	s_mul_i32 s7, s2, s5
	s_add_i32 s13, s6, s7
	s_mul_i32 s12, s2, s4
	s_lshl_b64 s[6:7], s[12:13], 2
	s_load_dword s2, s[0:1], 0x24
	s_waitcnt lgkmcnt(0)
	s_add_u32 s0, s10, s6
	s_addc_u32 s1, s11, s7
	s_lshl_b64 s[6:7], s[4:5], 1
	s_add_u32 s6, s0, s6
	s_addc_u32 s7, s1, s7
	s_lshl_b64 s[10:11], s[12:13], 1
	s_add_u32 s8, s8, s10
	s_mov_b32 s3, 0
	v_mov_b32_e32 v1, 0
	s_addc_u32 s9, s9, s11
	s_and_b32 s2, s2, 0xffff
                                        ; implicit-def: $vgpr5
                                        ; implicit-def: $vgpr5
	;; [unrolled: 1-line block ×3, first 2 shown]
	v_lshlrev_b32_e32 v2, 1, v0
	v_mov_b32_e32 v3, v1
	s_lshl_b32 s10, s2, 1
	s_mov_b32 s11, s3
	s_mov_b64 s[12:13], 0
	s_mov_b32 s16, 0x3f200000
	s_mov_b32 s17, 0x3fb8aa3b
	;; [unrolled: 1-line block ×4, first 2 shown]
	v_mov_b32_e32 v4, 0x3ca908c9
	s_brev_b32 s20, -2
	s_movk_i32 s21, 0x7fff
	v_mov_b32_e32 v5, 0x7fc00000
	v_mov_b32_e32 v6, 0x7fc0
	;; [unrolled: 1-line block ×3, first 2 shown]
	s_branch .LBB11_3
.LBB11_2:                               ;   in Loop: Header=BB11_3 Depth=1
	s_or_b64 exec, exec, s[14:15]
	v_bfi_b32 v10, s20, v11, v10
	v_mul_f32_e32 v9, 0.5, v9
	v_add_f32_e32 v10, 1.0, v10
	v_mul_f32_e32 v9, v9, v10
	v_bfe_u32 v10, v9, 16, 1
	v_add3_u32 v10, v9, v10, s21
	v_and_b32_e32 v10, 0xffff0000, v10
	v_cmp_o_f32_e32 vcc, v9, v9
	s_waitcnt vmcnt(0)
	v_lshlrev_b32_e32 v8, 16, v8
	v_lshl_add_u64 v[0:1], v[0:1], 0, s[2:3]
	v_cndmask_b32_e32 v9, v5, v10, vcc
	v_mul_f32_e32 v8, v9, v8
	v_bfe_u32 v9, v8, 16, 1
	v_add3_u32 v9, v8, v9, s21
	v_cmp_o_f32_e32 vcc, v8, v8
	s_nop 1
	v_cndmask_b32_sdwa v10, v6, v9, vcc dst_sel:DWORD dst_unused:UNUSED_PAD src0_sel:DWORD src1_sel:WORD_1
	v_cmp_le_i64_e32 vcc, s[4:5], v[0:1]
	v_lshl_add_u64 v[8:9], s[8:9], 0, v[2:3]
	s_or_b64 s[12:13], vcc, s[12:13]
	v_lshl_add_u64 v[2:3], v[2:3], 0, s[10:11]
	global_store_short v[8:9], v10, off
	s_andn2_b64 exec, exec, s[12:13]
	s_cbranch_execz .LBB11_7
.LBB11_3:                               ; =>This Inner Loop Header: Depth=1
	v_lshl_add_u64 v[8:9], s[0:1], 0, v[2:3]
	global_load_ushort v10, v[8:9], off
	v_lshl_add_u64 v[8:9], s[6:7], 0, v[2:3]
	global_load_ushort v8, v[8:9], off
                                        ; implicit-def: $vgpr11
	s_waitcnt vmcnt(1)
	v_lshlrev_b32_e32 v9, 16, v10
	v_mul_f32_e32 v10, v9, v9
	v_mul_f32_e32 v10, v10, v9
	v_fmamk_f32 v10, v10, 0x3d372713, v9
	v_mul_f32_e32 v10, 0x3f4c422a, v10
	v_cmp_nlt_f32_e64 s[14:15], |v10|, s16
	s_and_saveexec_b64 s[22:23], s[14:15]
	s_xor_b64 s[14:15], exec, s[22:23]
	s_cbranch_execz .LBB11_5
; %bb.4:                                ;   in Loop: Header=BB11_3 Depth=1
	v_add_f32_e64 v11, |v10|, |v10|
	v_mul_f32_e32 v12, 0x3fb8aa3b, v11
	v_rndne_f32_e32 v13, v12
	v_sub_f32_e32 v14, v12, v13
	v_fma_f32 v12, v11, s17, -v12
	v_fmac_f32_e32 v12, 0x32a5705f, v11
	v_add_f32_e32 v12, v14, v12
	v_cvt_i32_f32_e32 v13, v13
	v_exp_f32_e32 v12, v12
	v_cmp_ngt_f32_e32 vcc, s18, v11
	v_ldexp_f32 v12, v12, v13
	s_nop 0
	v_cndmask_b32_e32 v12, 0, v12, vcc
	v_cmp_nlt_f32_e32 vcc, s19, v11
	s_nop 1
	v_cndmask_b32_e32 v11, v7, v12, vcc
	v_add_f32_e32 v11, 1.0, v11
	v_rcp_f32_e32 v11, v11
	s_nop 0
	v_fma_f32 v11, v11, -2.0, 1.0
.LBB11_5:                               ;   in Loop: Header=BB11_3 Depth=1
	s_andn2_saveexec_b64 s[14:15], s[14:15]
	s_cbranch_execz .LBB11_2
; %bb.6:                                ;   in Loop: Header=BB11_3 Depth=1
	v_mul_f32_e32 v11, v10, v10
	v_fmamk_f32 v12, v11, 0xbbbac73d, v4
	v_fmaak_f32 v12, v11, v12, 0xbd5c1c4e
	v_fmaak_f32 v12, v11, v12, 0x3e088382
	;; [unrolled: 1-line block ×3, first 2 shown]
	v_mul_f32_e64 v12, |v10|, v12
	v_fma_f32 v11, v11, v12, |v10|
	s_branch .LBB11_2
.LBB11_7:
	s_endpgm
	.section	.rodata,"a",@progbits
	.p2align	6, 0x0
	.amdhsa_kernel _ZN4vllm18act_and_mul_kernelIN3c108BFloat16ETnPFT_RKS3_EXadL_ZNS_16gelu_tanh_kernelIS2_EES3_S5_EELb1EEEvPS3_PS4_i
		.amdhsa_group_segment_fixed_size 0
		.amdhsa_private_segment_fixed_size 0
		.amdhsa_kernarg_size 280
		.amdhsa_user_sgpr_count 2
		.amdhsa_user_sgpr_dispatch_ptr 0
		.amdhsa_user_sgpr_queue_ptr 0
		.amdhsa_user_sgpr_kernarg_segment_ptr 1
		.amdhsa_user_sgpr_dispatch_id 0
		.amdhsa_user_sgpr_kernarg_preload_length 0
		.amdhsa_user_sgpr_kernarg_preload_offset 0
		.amdhsa_user_sgpr_private_segment_size 0
		.amdhsa_uses_dynamic_stack 0
		.amdhsa_enable_private_segment 0
		.amdhsa_system_sgpr_workgroup_id_x 1
		.amdhsa_system_sgpr_workgroup_id_y 0
		.amdhsa_system_sgpr_workgroup_id_z 0
		.amdhsa_system_sgpr_workgroup_info 0
		.amdhsa_system_vgpr_workitem_id 0
		.amdhsa_next_free_vgpr 15
		.amdhsa_next_free_sgpr 24
		.amdhsa_accum_offset 16
		.amdhsa_reserve_vcc 1
		.amdhsa_float_round_mode_32 0
		.amdhsa_float_round_mode_16_64 0
		.amdhsa_float_denorm_mode_32 3
		.amdhsa_float_denorm_mode_16_64 3
		.amdhsa_dx10_clamp 1
		.amdhsa_ieee_mode 1
		.amdhsa_fp16_overflow 0
		.amdhsa_tg_split 0
		.amdhsa_exception_fp_ieee_invalid_op 0
		.amdhsa_exception_fp_denorm_src 0
		.amdhsa_exception_fp_ieee_div_zero 0
		.amdhsa_exception_fp_ieee_overflow 0
		.amdhsa_exception_fp_ieee_underflow 0
		.amdhsa_exception_fp_ieee_inexact 0
		.amdhsa_exception_int_div_zero 0
	.end_amdhsa_kernel
	.section	.text._ZN4vllm18act_and_mul_kernelIN3c108BFloat16ETnPFT_RKS3_EXadL_ZNS_16gelu_tanh_kernelIS2_EES3_S5_EELb1EEEvPS3_PS4_i,"axG",@progbits,_ZN4vllm18act_and_mul_kernelIN3c108BFloat16ETnPFT_RKS3_EXadL_ZNS_16gelu_tanh_kernelIS2_EES3_S5_EELb1EEEvPS3_PS4_i,comdat
.Lfunc_end11:
	.size	_ZN4vllm18act_and_mul_kernelIN3c108BFloat16ETnPFT_RKS3_EXadL_ZNS_16gelu_tanh_kernelIS2_EES3_S5_EELb1EEEvPS3_PS4_i, .Lfunc_end11-_ZN4vllm18act_and_mul_kernelIN3c108BFloat16ETnPFT_RKS3_EXadL_ZNS_16gelu_tanh_kernelIS2_EES3_S5_EELb1EEEvPS3_PS4_i
                                        ; -- End function
	.set _ZN4vllm18act_and_mul_kernelIN3c108BFloat16ETnPFT_RKS3_EXadL_ZNS_16gelu_tanh_kernelIS2_EES3_S5_EELb1EEEvPS3_PS4_i.num_vgpr, 15
	.set _ZN4vllm18act_and_mul_kernelIN3c108BFloat16ETnPFT_RKS3_EXadL_ZNS_16gelu_tanh_kernelIS2_EES3_S5_EELb1EEEvPS3_PS4_i.num_agpr, 0
	.set _ZN4vllm18act_and_mul_kernelIN3c108BFloat16ETnPFT_RKS3_EXadL_ZNS_16gelu_tanh_kernelIS2_EES3_S5_EELb1EEEvPS3_PS4_i.numbered_sgpr, 24
	.set _ZN4vllm18act_and_mul_kernelIN3c108BFloat16ETnPFT_RKS3_EXadL_ZNS_16gelu_tanh_kernelIS2_EES3_S5_EELb1EEEvPS3_PS4_i.num_named_barrier, 0
	.set _ZN4vllm18act_and_mul_kernelIN3c108BFloat16ETnPFT_RKS3_EXadL_ZNS_16gelu_tanh_kernelIS2_EES3_S5_EELb1EEEvPS3_PS4_i.private_seg_size, 0
	.set _ZN4vllm18act_and_mul_kernelIN3c108BFloat16ETnPFT_RKS3_EXadL_ZNS_16gelu_tanh_kernelIS2_EES3_S5_EELb1EEEvPS3_PS4_i.uses_vcc, 1
	.set _ZN4vllm18act_and_mul_kernelIN3c108BFloat16ETnPFT_RKS3_EXadL_ZNS_16gelu_tanh_kernelIS2_EES3_S5_EELb1EEEvPS3_PS4_i.uses_flat_scratch, 0
	.set _ZN4vllm18act_and_mul_kernelIN3c108BFloat16ETnPFT_RKS3_EXadL_ZNS_16gelu_tanh_kernelIS2_EES3_S5_EELb1EEEvPS3_PS4_i.has_dyn_sized_stack, 0
	.set _ZN4vllm18act_and_mul_kernelIN3c108BFloat16ETnPFT_RKS3_EXadL_ZNS_16gelu_tanh_kernelIS2_EES3_S5_EELb1EEEvPS3_PS4_i.has_recursion, 0
	.set _ZN4vllm18act_and_mul_kernelIN3c108BFloat16ETnPFT_RKS3_EXadL_ZNS_16gelu_tanh_kernelIS2_EES3_S5_EELb1EEEvPS3_PS4_i.has_indirect_call, 0
	.section	.AMDGPU.csdata,"",@progbits
; Kernel info:
; codeLenInByte = 616
; TotalNumSgprs: 30
; NumVgprs: 15
; NumAgprs: 0
; TotalNumVgprs: 15
; ScratchSize: 0
; MemoryBound: 0
; FloatMode: 240
; IeeeMode: 1
; LDSByteSize: 0 bytes/workgroup (compile time only)
; SGPRBlocks: 3
; VGPRBlocks: 1
; NumSGPRsForWavesPerEU: 30
; NumVGPRsForWavesPerEU: 15
; AccumOffset: 16
; Occupancy: 8
; WaveLimiterHint : 0
; COMPUTE_PGM_RSRC2:SCRATCH_EN: 0
; COMPUTE_PGM_RSRC2:USER_SGPR: 2
; COMPUTE_PGM_RSRC2:TRAP_HANDLER: 0
; COMPUTE_PGM_RSRC2:TGID_X_EN: 1
; COMPUTE_PGM_RSRC2:TGID_Y_EN: 0
; COMPUTE_PGM_RSRC2:TGID_Z_EN: 0
; COMPUTE_PGM_RSRC2:TIDIG_COMP_CNT: 0
; COMPUTE_PGM_RSRC3_GFX90A:ACCUM_OFFSET: 3
; COMPUTE_PGM_RSRC3_GFX90A:TG_SPLIT: 0
	.section	.text._ZN4vllm29act_and_mul_kernel_with_paramIfTnPFT_RKS1_fEXadL_ZNS_14fatrelu_kernelIfEES1_S3_fEEEEvPS1_PS2_if,"axG",@progbits,_ZN4vllm29act_and_mul_kernel_with_paramIfTnPFT_RKS1_fEXadL_ZNS_14fatrelu_kernelIfEES1_S3_fEEEEvPS1_PS2_if,comdat
	.protected	_ZN4vllm29act_and_mul_kernel_with_paramIfTnPFT_RKS1_fEXadL_ZNS_14fatrelu_kernelIfEES1_S3_fEEEEvPS1_PS2_if ; -- Begin function _ZN4vllm29act_and_mul_kernel_with_paramIfTnPFT_RKS1_fEXadL_ZNS_14fatrelu_kernelIfEES1_S3_fEEEEvPS1_PS2_if
	.globl	_ZN4vllm29act_and_mul_kernel_with_paramIfTnPFT_RKS1_fEXadL_ZNS_14fatrelu_kernelIfEES1_S3_fEEEEvPS1_PS2_if
	.p2align	8
	.type	_ZN4vllm29act_and_mul_kernel_with_paramIfTnPFT_RKS1_fEXadL_ZNS_14fatrelu_kernelIfEES1_S3_fEEEEvPS1_PS2_if,@function
_ZN4vllm29act_and_mul_kernel_with_paramIfTnPFT_RKS1_fEXadL_ZNS_14fatrelu_kernelIfEES1_S3_fEEEEvPS1_PS2_if: ; @_ZN4vllm29act_and_mul_kernel_with_paramIfTnPFT_RKS1_fEXadL_ZNS_14fatrelu_kernelIfEES1_S3_fEEEEvPS1_PS2_if
; %bb.0:
	s_load_dwordx2 s[8:9], s[0:1], 0x10
	s_waitcnt lgkmcnt(0)
	v_cmp_gt_i32_e32 vcc, s8, v0
	s_and_saveexec_b64 s[4:5], vcc
	s_cbranch_execz .LBB12_8
; %bb.1:
	v_mov_b32_e32 v1, 0
	s_load_dwordx4 s[4:7], s[0:1], 0x0
	s_load_dword s16, s[0:1], 0x24
	s_ashr_i32 s11, s8, 31
	s_mov_b32 s10, s8
	v_add_u32_e32 v2, 1, v0
	v_mov_b32_e32 v3, v1
	v_mov_b32_e32 v4, s11
	v_cmp_lt_i64_e32 vcc, s[10:11], v[2:3]
	s_mul_hi_u32 s3, s2, s8
	s_mul_i32 s0, s2, s11
	v_cndmask_b32_e64 v3, v4, 0, vcc
	v_mov_b32_e32 v4, s8
	s_add_i32 s13, s3, s0
	s_mul_i32 s12, s2, s8
	v_cndmask_b32_e32 v2, v4, v2, vcc
	s_lshl_b64 s[14:15], s[12:13], 3
	s_waitcnt lgkmcnt(0)
	s_and_b32 s0, s16, 0xffff
	v_sub_co_u32_e32 v2, vcc, v2, v0
	s_cmp_eq_u32 s0, 1
	s_nop 0
	v_subbrev_co_u32_e32 v3, vcc, 0, v3, vcc
	v_cmp_lt_u64_e32 vcc, 1, v[2:3]
	s_cselect_b64 s[16:17], -1, 0
	s_and_b64 s[20:21], vcc, s[16:17]
	s_mov_b64 s[18:19], -1
	s_and_saveexec_b64 s[16:17], s[20:21]
	s_cbranch_execz .LBB12_5
; %bb.2:
	s_lshl_b64 s[18:19], s[12:13], 2
	s_mov_b32 s3, 0
	s_add_u32 s18, s4, s18
	s_addc_u32 s19, s5, s19
	s_lshl_b64 s[2:3], s[2:3], 3
	v_lshlrev_b64 v[10:11], 2, v[0:1]
	s_or_b32 s2, s2, 4
	v_lshl_add_u64 v[6:7], s[18:19], 0, v[10:11]
	s_mul_i32 s8, s2, s11
	s_mul_hi_u32 s18, s2, s10
	s_add_i32 s8, s18, s8
	s_mul_i32 s3, s3, s10
	s_add_i32 s8, s8, s3
	s_mul_i32 s2, s2, s10
	s_add_u32 s2, s6, s2
	s_addc_u32 s3, s7, s8
	v_lshl_add_u64 v[8:9], s[2:3], 0, v[10:11]
	s_add_u32 s2, s6, s14
	v_and_b32_e32 v4, -2, v2
	v_mov_b32_e32 v5, v3
	s_addc_u32 s3, s7, s15
	s_mov_b32 s1, s9
	v_lshl_add_u64 v[10:11], s[2:3], 0, v[10:11]
	s_mov_b64 s[2:3], 0
	v_mov_b64_e32 v[12:13], v[4:5]
.LBB12_3:                               ; =>This Inner Loop Header: Depth=1
	global_load_dwordx2 v[14:15], v[10:11], off
	global_load_dwordx2 v[16:17], v[8:9], off
	v_lshl_add_u64 v[12:13], v[12:13], 0, -2
	v_cmp_eq_u64_e32 vcc, 0, v[12:13]
	s_or_b64 s[2:3], vcc, s[2:3]
	v_lshl_add_u64 v[8:9], v[8:9], 0, 8
	v_lshl_add_u64 v[10:11], v[10:11], 0, 8
	s_waitcnt vmcnt(1)
	v_cmp_lt_f32_e32 vcc, s9, v15
	s_nop 1
	v_cndmask_b32_e32 v15, 0, v15, vcc
	v_cmp_lt_f32_e32 vcc, s1, v14
	s_nop 1
	v_cndmask_b32_e32 v14, 0, v14, vcc
	s_waitcnt vmcnt(0)
	v_pk_mul_f32 v[14:15], v[16:17], v[14:15]
	global_store_dwordx2 v[6:7], v[14:15], off
	v_lshl_add_u64 v[6:7], v[6:7], 0, 8
	s_andn2_b64 exec, exec, s[2:3]
	s_cbranch_execnz .LBB12_3
; %bb.4:
	s_or_b64 exec, exec, s[2:3]
	v_cmp_ne_u64_e32 vcc, v[2:3], v[4:5]
	v_lshl_add_u64 v[0:1], v[4:5], 0, v[0:1]
	s_orn2_b64 s[18:19], vcc, exec
.LBB12_5:
	s_or_b64 exec, exec, s[16:17]
	s_and_b64 exec, exec, s[18:19]
	s_cbranch_execz .LBB12_8
; %bb.6:
	s_add_u32 s2, s6, s14
	s_addc_u32 s3, s7, s15
	s_lshl_b64 s[6:7], s[10:11], 2
	s_add_u32 s6, s2, s6
	s_addc_u32 s7, s3, s7
	s_lshl_b64 s[12:13], s[12:13], 2
	s_add_u32 s4, s4, s12
	s_mov_b32 s1, 0
	s_addc_u32 s5, s5, s13
	v_lshlrev_b64 v[2:3], 2, v[0:1]
	s_lshl_b32 s12, s0, 2
	s_mov_b32 s13, s1
	s_mov_b64 s[14:15], 0
.LBB12_7:                               ; =>This Inner Loop Header: Depth=1
	v_lshl_add_u64 v[4:5], s[2:3], 0, v[2:3]
	v_lshl_add_u64 v[6:7], s[6:7], 0, v[2:3]
	global_load_dword v8, v[4:5], off
	global_load_dword v9, v[6:7], off
	v_lshl_add_u64 v[0:1], v[0:1], 0, s[0:1]
	v_cmp_le_i64_e32 vcc, s[10:11], v[0:1]
	s_or_b64 s[14:15], vcc, s[14:15]
	v_lshl_add_u64 v[4:5], s[4:5], 0, v[2:3]
	v_lshl_add_u64 v[2:3], v[2:3], 0, s[12:13]
	s_waitcnt vmcnt(1)
	v_cmp_lt_f32_e32 vcc, s9, v8
	s_nop 1
	v_cndmask_b32_e32 v6, 0, v8, vcc
	s_waitcnt vmcnt(0)
	v_mul_f32_e32 v6, v9, v6
	global_store_dword v[4:5], v6, off
	s_andn2_b64 exec, exec, s[14:15]
	s_cbranch_execnz .LBB12_7
.LBB12_8:
	s_endpgm
	.section	.rodata,"a",@progbits
	.p2align	6, 0x0
	.amdhsa_kernel _ZN4vllm29act_and_mul_kernel_with_paramIfTnPFT_RKS1_fEXadL_ZNS_14fatrelu_kernelIfEES1_S3_fEEEEvPS1_PS2_if
		.amdhsa_group_segment_fixed_size 0
		.amdhsa_private_segment_fixed_size 0
		.amdhsa_kernarg_size 280
		.amdhsa_user_sgpr_count 2
		.amdhsa_user_sgpr_dispatch_ptr 0
		.amdhsa_user_sgpr_queue_ptr 0
		.amdhsa_user_sgpr_kernarg_segment_ptr 1
		.amdhsa_user_sgpr_dispatch_id 0
		.amdhsa_user_sgpr_kernarg_preload_length 0
		.amdhsa_user_sgpr_kernarg_preload_offset 0
		.amdhsa_user_sgpr_private_segment_size 0
		.amdhsa_uses_dynamic_stack 0
		.amdhsa_enable_private_segment 0
		.amdhsa_system_sgpr_workgroup_id_x 1
		.amdhsa_system_sgpr_workgroup_id_y 0
		.amdhsa_system_sgpr_workgroup_id_z 0
		.amdhsa_system_sgpr_workgroup_info 0
		.amdhsa_system_vgpr_workitem_id 0
		.amdhsa_next_free_vgpr 18
		.amdhsa_next_free_sgpr 22
		.amdhsa_accum_offset 20
		.amdhsa_reserve_vcc 1
		.amdhsa_float_round_mode_32 0
		.amdhsa_float_round_mode_16_64 0
		.amdhsa_float_denorm_mode_32 3
		.amdhsa_float_denorm_mode_16_64 3
		.amdhsa_dx10_clamp 1
		.amdhsa_ieee_mode 1
		.amdhsa_fp16_overflow 0
		.amdhsa_tg_split 0
		.amdhsa_exception_fp_ieee_invalid_op 0
		.amdhsa_exception_fp_denorm_src 0
		.amdhsa_exception_fp_ieee_div_zero 0
		.amdhsa_exception_fp_ieee_overflow 0
		.amdhsa_exception_fp_ieee_underflow 0
		.amdhsa_exception_fp_ieee_inexact 0
		.amdhsa_exception_int_div_zero 0
	.end_amdhsa_kernel
	.section	.text._ZN4vllm29act_and_mul_kernel_with_paramIfTnPFT_RKS1_fEXadL_ZNS_14fatrelu_kernelIfEES1_S3_fEEEEvPS1_PS2_if,"axG",@progbits,_ZN4vllm29act_and_mul_kernel_with_paramIfTnPFT_RKS1_fEXadL_ZNS_14fatrelu_kernelIfEES1_S3_fEEEEvPS1_PS2_if,comdat
.Lfunc_end12:
	.size	_ZN4vllm29act_and_mul_kernel_with_paramIfTnPFT_RKS1_fEXadL_ZNS_14fatrelu_kernelIfEES1_S3_fEEEEvPS1_PS2_if, .Lfunc_end12-_ZN4vllm29act_and_mul_kernel_with_paramIfTnPFT_RKS1_fEXadL_ZNS_14fatrelu_kernelIfEES1_S3_fEEEEvPS1_PS2_if
                                        ; -- End function
	.set _ZN4vllm29act_and_mul_kernel_with_paramIfTnPFT_RKS1_fEXadL_ZNS_14fatrelu_kernelIfEES1_S3_fEEEEvPS1_PS2_if.num_vgpr, 18
	.set _ZN4vllm29act_and_mul_kernel_with_paramIfTnPFT_RKS1_fEXadL_ZNS_14fatrelu_kernelIfEES1_S3_fEEEEvPS1_PS2_if.num_agpr, 0
	.set _ZN4vllm29act_and_mul_kernel_with_paramIfTnPFT_RKS1_fEXadL_ZNS_14fatrelu_kernelIfEES1_S3_fEEEEvPS1_PS2_if.numbered_sgpr, 22
	.set _ZN4vllm29act_and_mul_kernel_with_paramIfTnPFT_RKS1_fEXadL_ZNS_14fatrelu_kernelIfEES1_S3_fEEEEvPS1_PS2_if.num_named_barrier, 0
	.set _ZN4vllm29act_and_mul_kernel_with_paramIfTnPFT_RKS1_fEXadL_ZNS_14fatrelu_kernelIfEES1_S3_fEEEEvPS1_PS2_if.private_seg_size, 0
	.set _ZN4vllm29act_and_mul_kernel_with_paramIfTnPFT_RKS1_fEXadL_ZNS_14fatrelu_kernelIfEES1_S3_fEEEEvPS1_PS2_if.uses_vcc, 1
	.set _ZN4vllm29act_and_mul_kernel_with_paramIfTnPFT_RKS1_fEXadL_ZNS_14fatrelu_kernelIfEES1_S3_fEEEEvPS1_PS2_if.uses_flat_scratch, 0
	.set _ZN4vllm29act_and_mul_kernel_with_paramIfTnPFT_RKS1_fEXadL_ZNS_14fatrelu_kernelIfEES1_S3_fEEEEvPS1_PS2_if.has_dyn_sized_stack, 0
	.set _ZN4vllm29act_and_mul_kernel_with_paramIfTnPFT_RKS1_fEXadL_ZNS_14fatrelu_kernelIfEES1_S3_fEEEEvPS1_PS2_if.has_recursion, 0
	.set _ZN4vllm29act_and_mul_kernel_with_paramIfTnPFT_RKS1_fEXadL_ZNS_14fatrelu_kernelIfEES1_S3_fEEEEvPS1_PS2_if.has_indirect_call, 0
	.section	.AMDGPU.csdata,"",@progbits
; Kernel info:
; codeLenInByte = 580
; TotalNumSgprs: 28
; NumVgprs: 18
; NumAgprs: 0
; TotalNumVgprs: 18
; ScratchSize: 0
; MemoryBound: 0
; FloatMode: 240
; IeeeMode: 1
; LDSByteSize: 0 bytes/workgroup (compile time only)
; SGPRBlocks: 3
; VGPRBlocks: 2
; NumSGPRsForWavesPerEU: 28
; NumVGPRsForWavesPerEU: 18
; AccumOffset: 20
; Occupancy: 8
; WaveLimiterHint : 0
; COMPUTE_PGM_RSRC2:SCRATCH_EN: 0
; COMPUTE_PGM_RSRC2:USER_SGPR: 2
; COMPUTE_PGM_RSRC2:TRAP_HANDLER: 0
; COMPUTE_PGM_RSRC2:TGID_X_EN: 1
; COMPUTE_PGM_RSRC2:TGID_Y_EN: 0
; COMPUTE_PGM_RSRC2:TGID_Z_EN: 0
; COMPUTE_PGM_RSRC2:TIDIG_COMP_CNT: 0
; COMPUTE_PGM_RSRC3_GFX90A:ACCUM_OFFSET: 4
; COMPUTE_PGM_RSRC3_GFX90A:TG_SPLIT: 0
	.section	.text._ZN4vllm29act_and_mul_kernel_with_paramIN3c104HalfETnPFT_RKS3_fEXadL_ZNS_14fatrelu_kernelIS2_EES3_S5_fEEEEvPS3_PS4_if,"axG",@progbits,_ZN4vllm29act_and_mul_kernel_with_paramIN3c104HalfETnPFT_RKS3_fEXadL_ZNS_14fatrelu_kernelIS2_EES3_S5_fEEEEvPS3_PS4_if,comdat
	.protected	_ZN4vllm29act_and_mul_kernel_with_paramIN3c104HalfETnPFT_RKS3_fEXadL_ZNS_14fatrelu_kernelIS2_EES3_S5_fEEEEvPS3_PS4_if ; -- Begin function _ZN4vllm29act_and_mul_kernel_with_paramIN3c104HalfETnPFT_RKS3_fEXadL_ZNS_14fatrelu_kernelIS2_EES3_S5_fEEEEvPS3_PS4_if
	.globl	_ZN4vllm29act_and_mul_kernel_with_paramIN3c104HalfETnPFT_RKS3_fEXadL_ZNS_14fatrelu_kernelIS2_EES3_S5_fEEEEvPS3_PS4_if
	.p2align	8
	.type	_ZN4vllm29act_and_mul_kernel_with_paramIN3c104HalfETnPFT_RKS3_fEXadL_ZNS_14fatrelu_kernelIS2_EES3_S5_fEEEEvPS3_PS4_if,@function
_ZN4vllm29act_and_mul_kernel_with_paramIN3c104HalfETnPFT_RKS3_fEXadL_ZNS_14fatrelu_kernelIS2_EES3_S5_fEEEEvPS3_PS4_if: ; @_ZN4vllm29act_and_mul_kernel_with_paramIN3c104HalfETnPFT_RKS3_fEXadL_ZNS_14fatrelu_kernelIS2_EES3_S5_fEEEEvPS3_PS4_if
; %bb.0:
	s_load_dwordx2 s[8:9], s[0:1], 0x10
	s_waitcnt lgkmcnt(0)
	v_cmp_gt_i32_e32 vcc, s8, v0
	s_and_saveexec_b64 s[4:5], vcc
	s_cbranch_execz .LBB13_8
; %bb.1:
	v_mov_b32_e32 v1, 0
	s_load_dwordx4 s[4:7], s[0:1], 0x0
	s_load_dword s16, s[0:1], 0x24
	s_ashr_i32 s11, s8, 31
	s_mov_b32 s10, s8
	v_add_u32_e32 v2, 1, v0
	v_mov_b32_e32 v3, v1
	v_mov_b32_e32 v4, s11
	v_cmp_lt_i64_e32 vcc, s[10:11], v[2:3]
	s_mul_hi_u32 s3, s2, s8
	s_mul_i32 s0, s2, s11
	v_cndmask_b32_e64 v3, v4, 0, vcc
	v_mov_b32_e32 v4, s8
	s_add_i32 s13, s3, s0
	s_mul_i32 s12, s2, s8
	v_cndmask_b32_e32 v2, v4, v2, vcc
	s_lshl_b64 s[14:15], s[12:13], 2
	s_waitcnt lgkmcnt(0)
	s_and_b32 s0, s16, 0xffff
	v_sub_co_u32_e32 v2, vcc, v2, v0
	s_cmp_eq_u32 s0, 1
	s_nop 0
	v_subbrev_co_u32_e32 v3, vcc, 0, v3, vcc
	v_cmp_lt_u64_e32 vcc, 3, v[2:3]
	s_cselect_b64 s[16:17], -1, 0
	s_and_b64 s[20:21], vcc, s[16:17]
	s_mov_b64 s[18:19], -1
	s_and_saveexec_b64 s[16:17], s[20:21]
	s_cbranch_execz .LBB13_5
; %bb.2:
	s_lshl_b64 s[20:21], s[12:13], 1
	s_mov_b32 s3, 0
	s_add_u32 s20, s4, s20
	s_addc_u32 s21, s5, s21
	s_lshl_b64 s[2:3], s[2:3], 2
	v_lshlrev_b64 v[10:11], 1, v[0:1]
	s_or_b32 s2, s2, 2
	v_lshl_add_u64 v[6:7], s[20:21], 0, v[10:11]
	s_mul_i32 s19, s2, s11
	s_mul_hi_u32 s20, s2, s10
	s_add_i32 s19, s20, s19
	s_mul_i32 s3, s3, s10
	s_add_i32 s19, s19, s3
	s_mul_i32 s2, s2, s10
	s_add_u32 s2, s6, s2
	s_addc_u32 s3, s7, s19
	v_lshl_add_u64 v[8:9], s[2:3], 0, v[10:11]
	s_add_u32 s2, s6, s14
	v_and_b32_e32 v4, -4, v2
	v_mov_b32_e32 v5, v3
	s_addc_u32 s3, s7, s15
	s_mov_b32 s1, s9
	s_mov_b32 s8, s9
	;; [unrolled: 1-line block ×3, first 2 shown]
	v_lshl_add_u64 v[10:11], s[2:3], 0, v[10:11]
	s_mov_b64 s[2:3], 0
	s_mov_b32 s19, 0x5040100
	v_mov_b64_e32 v[12:13], v[4:5]
.LBB13_3:                               ; =>This Inner Loop Header: Depth=1
	global_load_dwordx2 v[14:15], v[10:11], off
	global_load_dwordx2 v[16:17], v[8:9], off
	v_lshl_add_u64 v[12:13], v[12:13], 0, -4
	v_cmp_eq_u64_e32 vcc, 0, v[12:13]
	s_or_b64 s[2:3], vcc, s[2:3]
	v_lshl_add_u64 v[8:9], v[8:9], 0, 8
	v_lshl_add_u64 v[10:11], v[10:11], 0, 8
	s_waitcnt vmcnt(1)
	v_cvt_f32_f16_e32 v20, v14
	v_lshrrev_b32_e32 v18, 16, v14
	v_cvt_f32_f16_e32 v21, v15
	v_lshrrev_b32_e32 v19, 16, v15
	v_cvt_f32_f16_e32 v22, v18
	v_cvt_f32_f16_e32 v23, v19
	v_cmp_lt_f32_e32 vcc, s1, v20
	s_nop 1
	v_cndmask_b32_e32 v14, 0, v14, vcc
	v_cmp_lt_f32_e32 vcc, s8, v21
	s_nop 1
	v_cndmask_b32_e32 v15, 0, v15, vcc
	;; [unrolled: 3-line block ×3, first 2 shown]
	v_cmp_lt_f32_e32 vcc, s18, v23
	v_perm_b32 v14, v18, v14, s19
	s_waitcnt vmcnt(0)
	v_pk_mul_f16 v14, v16, v14
	v_cndmask_b32_e32 v19, 0, v19, vcc
	v_perm_b32 v15, v19, v15, s19
	v_pk_mul_f16 v15, v17, v15
	global_store_dwordx2 v[6:7], v[14:15], off
	v_lshl_add_u64 v[6:7], v[6:7], 0, 8
	s_andn2_b64 exec, exec, s[2:3]
	s_cbranch_execnz .LBB13_3
; %bb.4:
	s_or_b64 exec, exec, s[2:3]
	v_cmp_ne_u64_e32 vcc, v[2:3], v[4:5]
	v_lshl_add_u64 v[0:1], v[4:5], 0, v[0:1]
	s_orn2_b64 s[18:19], vcc, exec
.LBB13_5:
	s_or_b64 exec, exec, s[16:17]
	s_and_b64 exec, exec, s[18:19]
	s_cbranch_execz .LBB13_8
; %bb.6:
	s_add_u32 s2, s6, s14
	s_addc_u32 s3, s7, s15
	s_lshl_b64 s[6:7], s[10:11], 1
	s_add_u32 s6, s2, s6
	s_addc_u32 s7, s3, s7
	s_lshl_b64 s[12:13], s[12:13], 1
	s_add_u32 s4, s4, s12
	s_mov_b32 s1, 0
	s_addc_u32 s5, s5, s13
	v_lshlrev_b64 v[2:3], 1, v[0:1]
	s_lshl_b32 s12, s0, 1
	s_mov_b32 s13, s1
	s_mov_b64 s[14:15], 0
.LBB13_7:                               ; =>This Inner Loop Header: Depth=1
	v_lshl_add_u64 v[4:5], s[2:3], 0, v[2:3]
	global_load_ushort v6, v[4:5], off
	v_lshl_add_u64 v[4:5], s[6:7], 0, v[2:3]
	global_load_ushort v7, v[4:5], off
	v_lshl_add_u64 v[0:1], v[0:1], 0, s[0:1]
	v_cmp_le_i64_e32 vcc, s[10:11], v[0:1]
	s_or_b64 s[14:15], vcc, s[14:15]
	v_lshl_add_u64 v[4:5], s[4:5], 0, v[2:3]
	v_lshl_add_u64 v[2:3], v[2:3], 0, s[12:13]
	s_waitcnt vmcnt(1)
	v_cvt_f32_f16_e32 v8, v6
	v_cmp_lt_f32_e32 vcc, s9, v8
	s_nop 1
	v_cndmask_b32_e32 v6, 0, v6, vcc
	s_waitcnt vmcnt(0)
	v_mul_f16_e32 v6, v7, v6
	global_store_short v[4:5], v6, off
	s_andn2_b64 exec, exec, s[14:15]
	s_cbranch_execnz .LBB13_7
.LBB13_8:
	s_endpgm
	.section	.rodata,"a",@progbits
	.p2align	6, 0x0
	.amdhsa_kernel _ZN4vllm29act_and_mul_kernel_with_paramIN3c104HalfETnPFT_RKS3_fEXadL_ZNS_14fatrelu_kernelIS2_EES3_S5_fEEEEvPS3_PS4_if
		.amdhsa_group_segment_fixed_size 0
		.amdhsa_private_segment_fixed_size 0
		.amdhsa_kernarg_size 280
		.amdhsa_user_sgpr_count 2
		.amdhsa_user_sgpr_dispatch_ptr 0
		.amdhsa_user_sgpr_queue_ptr 0
		.amdhsa_user_sgpr_kernarg_segment_ptr 1
		.amdhsa_user_sgpr_dispatch_id 0
		.amdhsa_user_sgpr_kernarg_preload_length 0
		.amdhsa_user_sgpr_kernarg_preload_offset 0
		.amdhsa_user_sgpr_private_segment_size 0
		.amdhsa_uses_dynamic_stack 0
		.amdhsa_enable_private_segment 0
		.amdhsa_system_sgpr_workgroup_id_x 1
		.amdhsa_system_sgpr_workgroup_id_y 0
		.amdhsa_system_sgpr_workgroup_id_z 0
		.amdhsa_system_sgpr_workgroup_info 0
		.amdhsa_system_vgpr_workitem_id 0
		.amdhsa_next_free_vgpr 24
		.amdhsa_next_free_sgpr 22
		.amdhsa_accum_offset 24
		.amdhsa_reserve_vcc 1
		.amdhsa_float_round_mode_32 0
		.amdhsa_float_round_mode_16_64 0
		.amdhsa_float_denorm_mode_32 3
		.amdhsa_float_denorm_mode_16_64 3
		.amdhsa_dx10_clamp 1
		.amdhsa_ieee_mode 1
		.amdhsa_fp16_overflow 0
		.amdhsa_tg_split 0
		.amdhsa_exception_fp_ieee_invalid_op 0
		.amdhsa_exception_fp_denorm_src 0
		.amdhsa_exception_fp_ieee_div_zero 0
		.amdhsa_exception_fp_ieee_overflow 0
		.amdhsa_exception_fp_ieee_underflow 0
		.amdhsa_exception_fp_ieee_inexact 0
		.amdhsa_exception_int_div_zero 0
	.end_amdhsa_kernel
	.section	.text._ZN4vllm29act_and_mul_kernel_with_paramIN3c104HalfETnPFT_RKS3_fEXadL_ZNS_14fatrelu_kernelIS2_EES3_S5_fEEEEvPS3_PS4_if,"axG",@progbits,_ZN4vllm29act_and_mul_kernel_with_paramIN3c104HalfETnPFT_RKS3_fEXadL_ZNS_14fatrelu_kernelIS2_EES3_S5_fEEEEvPS3_PS4_if,comdat
.Lfunc_end13:
	.size	_ZN4vllm29act_and_mul_kernel_with_paramIN3c104HalfETnPFT_RKS3_fEXadL_ZNS_14fatrelu_kernelIS2_EES3_S5_fEEEEvPS3_PS4_if, .Lfunc_end13-_ZN4vllm29act_and_mul_kernel_with_paramIN3c104HalfETnPFT_RKS3_fEXadL_ZNS_14fatrelu_kernelIS2_EES3_S5_fEEEEvPS3_PS4_if
                                        ; -- End function
	.set _ZN4vllm29act_and_mul_kernel_with_paramIN3c104HalfETnPFT_RKS3_fEXadL_ZNS_14fatrelu_kernelIS2_EES3_S5_fEEEEvPS3_PS4_if.num_vgpr, 24
	.set _ZN4vllm29act_and_mul_kernel_with_paramIN3c104HalfETnPFT_RKS3_fEXadL_ZNS_14fatrelu_kernelIS2_EES3_S5_fEEEEvPS3_PS4_if.num_agpr, 0
	.set _ZN4vllm29act_and_mul_kernel_with_paramIN3c104HalfETnPFT_RKS3_fEXadL_ZNS_14fatrelu_kernelIS2_EES3_S5_fEEEEvPS3_PS4_if.numbered_sgpr, 22
	.set _ZN4vllm29act_and_mul_kernel_with_paramIN3c104HalfETnPFT_RKS3_fEXadL_ZNS_14fatrelu_kernelIS2_EES3_S5_fEEEEvPS3_PS4_if.num_named_barrier, 0
	.set _ZN4vllm29act_and_mul_kernel_with_paramIN3c104HalfETnPFT_RKS3_fEXadL_ZNS_14fatrelu_kernelIS2_EES3_S5_fEEEEvPS3_PS4_if.private_seg_size, 0
	.set _ZN4vllm29act_and_mul_kernel_with_paramIN3c104HalfETnPFT_RKS3_fEXadL_ZNS_14fatrelu_kernelIS2_EES3_S5_fEEEEvPS3_PS4_if.uses_vcc, 1
	.set _ZN4vllm29act_and_mul_kernel_with_paramIN3c104HalfETnPFT_RKS3_fEXadL_ZNS_14fatrelu_kernelIS2_EES3_S5_fEEEEvPS3_PS4_if.uses_flat_scratch, 0
	.set _ZN4vllm29act_and_mul_kernel_with_paramIN3c104HalfETnPFT_RKS3_fEXadL_ZNS_14fatrelu_kernelIS2_EES3_S5_fEEEEvPS3_PS4_if.has_dyn_sized_stack, 0
	.set _ZN4vllm29act_and_mul_kernel_with_paramIN3c104HalfETnPFT_RKS3_fEXadL_ZNS_14fatrelu_kernelIS2_EES3_S5_fEEEEvPS3_PS4_if.has_recursion, 0
	.set _ZN4vllm29act_and_mul_kernel_with_paramIN3c104HalfETnPFT_RKS3_fEXadL_ZNS_14fatrelu_kernelIS2_EES3_S5_fEEEEvPS3_PS4_if.has_indirect_call, 0
	.section	.AMDGPU.csdata,"",@progbits
; Kernel info:
; codeLenInByte = 668
; TotalNumSgprs: 28
; NumVgprs: 24
; NumAgprs: 0
; TotalNumVgprs: 24
; ScratchSize: 0
; MemoryBound: 0
; FloatMode: 240
; IeeeMode: 1
; LDSByteSize: 0 bytes/workgroup (compile time only)
; SGPRBlocks: 3
; VGPRBlocks: 2
; NumSGPRsForWavesPerEU: 28
; NumVGPRsForWavesPerEU: 24
; AccumOffset: 24
; Occupancy: 8
; WaveLimiterHint : 0
; COMPUTE_PGM_RSRC2:SCRATCH_EN: 0
; COMPUTE_PGM_RSRC2:USER_SGPR: 2
; COMPUTE_PGM_RSRC2:TRAP_HANDLER: 0
; COMPUTE_PGM_RSRC2:TGID_X_EN: 1
; COMPUTE_PGM_RSRC2:TGID_Y_EN: 0
; COMPUTE_PGM_RSRC2:TGID_Z_EN: 0
; COMPUTE_PGM_RSRC2:TIDIG_COMP_CNT: 0
; COMPUTE_PGM_RSRC3_GFX90A:ACCUM_OFFSET: 5
; COMPUTE_PGM_RSRC3_GFX90A:TG_SPLIT: 0
	.section	.text._ZN4vllm29act_and_mul_kernel_with_paramIN3c108BFloat16ETnPFT_RKS3_fEXadL_ZNS_14fatrelu_kernelIS2_EES3_S5_fEEEEvPS3_PS4_if,"axG",@progbits,_ZN4vllm29act_and_mul_kernel_with_paramIN3c108BFloat16ETnPFT_RKS3_fEXadL_ZNS_14fatrelu_kernelIS2_EES3_S5_fEEEEvPS3_PS4_if,comdat
	.protected	_ZN4vllm29act_and_mul_kernel_with_paramIN3c108BFloat16ETnPFT_RKS3_fEXadL_ZNS_14fatrelu_kernelIS2_EES3_S5_fEEEEvPS3_PS4_if ; -- Begin function _ZN4vllm29act_and_mul_kernel_with_paramIN3c108BFloat16ETnPFT_RKS3_fEXadL_ZNS_14fatrelu_kernelIS2_EES3_S5_fEEEEvPS3_PS4_if
	.globl	_ZN4vllm29act_and_mul_kernel_with_paramIN3c108BFloat16ETnPFT_RKS3_fEXadL_ZNS_14fatrelu_kernelIS2_EES3_S5_fEEEEvPS3_PS4_if
	.p2align	8
	.type	_ZN4vllm29act_and_mul_kernel_with_paramIN3c108BFloat16ETnPFT_RKS3_fEXadL_ZNS_14fatrelu_kernelIS2_EES3_S5_fEEEEvPS3_PS4_if,@function
_ZN4vllm29act_and_mul_kernel_with_paramIN3c108BFloat16ETnPFT_RKS3_fEXadL_ZNS_14fatrelu_kernelIS2_EES3_S5_fEEEEvPS3_PS4_if: ; @_ZN4vllm29act_and_mul_kernel_with_paramIN3c108BFloat16ETnPFT_RKS3_fEXadL_ZNS_14fatrelu_kernelIS2_EES3_S5_fEEEEvPS3_PS4_if
; %bb.0:
	s_load_dwordx2 s[6:7], s[0:1], 0x10
	s_waitcnt lgkmcnt(0)
	v_cmp_gt_i32_e32 vcc, s6, v0
	s_and_saveexec_b64 s[4:5], vcc
	s_cbranch_execz .LBB14_8
; %bb.1:
	v_mov_b32_e32 v1, 0
	s_load_dwordx4 s[8:11], s[0:1], 0x0
	s_load_dword s4, s[0:1], 0x24
	s_ashr_i32 s13, s6, 31
	s_mov_b32 s12, s6
	v_add_u32_e32 v2, 1, v0
	v_mov_b32_e32 v3, v1
	v_mov_b32_e32 v4, s13
	v_cmp_lt_i64_e32 vcc, s[12:13], v[2:3]
	s_mul_hi_u32 s3, s2, s6
	s_mul_i32 s0, s2, s13
	v_cndmask_b32_e64 v3, v4, 0, vcc
	v_mov_b32_e32 v4, s6
	s_add_i32 s17, s3, s0
	s_mul_i32 s16, s2, s6
	v_cndmask_b32_e32 v2, v4, v2, vcc
	s_lshl_b64 s[18:19], s[16:17], 2
	s_waitcnt lgkmcnt(0)
	s_and_b32 s14, s4, 0xffff
	v_sub_co_u32_e32 v2, vcc, v2, v0
	s_cmp_eq_u32 s14, 1
	s_nop 0
	v_subbrev_co_u32_e32 v3, vcc, 0, v3, vcc
	v_cmp_lt_u64_e32 vcc, 3, v[2:3]
	s_cselect_b64 s[0:1], -1, 0
	s_and_b64 s[4:5], vcc, s[0:1]
	s_mov_b64 s[0:1], -1
	s_and_saveexec_b64 s[20:21], s[4:5]
	s_cbranch_execz .LBB14_5
; %bb.2:
	s_lshl_b64 s[0:1], s[16:17], 1
	s_add_u32 s0, s8, s0
	s_mov_b32 s3, 0
	v_lshlrev_b64 v[10:11], 1, v[0:1]
	s_addc_u32 s1, s9, s1
	v_lshl_add_u64 v[6:7], s[0:1], 0, v[10:11]
	s_lshl_b64 s[0:1], s[2:3], 2
	s_or_b32 s0, s0, 2
	s_mul_i32 s2, s0, s13
	s_mul_hi_u32 s3, s0, s12
	s_add_i32 s2, s3, s2
	s_mul_i32 s1, s1, s12
	s_add_i32 s2, s2, s1
	s_mul_i32 s0, s0, s12
	s_add_u32 s0, s10, s0
	s_addc_u32 s1, s11, s2
	v_lshl_add_u64 v[8:9], s[0:1], 0, v[10:11]
	s_add_u32 s0, s10, s18
	v_and_b32_e32 v4, -4, v2
	v_mov_b32_e32 v5, v3
	s_addc_u32 s1, s11, s19
	s_mov_b32 s6, s7
	s_mov_b32 s15, s7
	s_mov_b32 s24, s7
	v_lshl_add_u64 v[10:11], s[0:1], 0, v[10:11]
	s_mov_b64 s[22:23], 0
	s_movk_i32 s25, 0x7fff
	v_mov_b32_e32 v14, 0x7fc00000
	v_mov_b32_e32 v15, 0x7fc0
	s_mov_b32 s26, 0x5040100
	v_mov_b64_e32 v[12:13], v[4:5]
.LBB14_3:                               ; =>This Inner Loop Header: Depth=1
	global_load_dwordx2 v[16:17], v[10:11], off
	global_load_dwordx2 v[18:19], v[8:9], off
	v_lshl_add_u64 v[12:13], v[12:13], 0, -4
	v_cmp_eq_u64_e32 vcc, 0, v[12:13]
	s_or_b64 s[22:23], vcc, s[22:23]
	v_lshl_add_u64 v[8:9], v[8:9], 0, 8
	v_lshl_add_u64 v[10:11], v[10:11], 0, 8
	s_waitcnt vmcnt(1)
	v_and_b32_e32 v22, 0xffff0000, v16
	v_and_b32_e32 v23, 0xffff0000, v17
	v_cmp_lt_f32_e32 vcc, s7, v22
	v_lshlrev_b32_e32 v24, 16, v16
	s_waitcnt vmcnt(0)
	v_and_b32_e32 v21, 0xffff0000, v18
	v_lshlrev_b32_e32 v20, 16, v18
	v_cndmask_b32_e32 v18, 0, v22, vcc
	v_cmp_lt_f32_e32 vcc, s24, v23
	v_lshlrev_b32_e32 v25, 16, v17
	v_and_b32_e32 v17, 0xffff0000, v19
	v_lshlrev_b32_e32 v16, 16, v19
	v_cndmask_b32_e32 v19, 0, v23, vcc
	v_cmp_lt_f32_e32 vcc, s6, v24
	v_cmp_o_f32_e64 s[4:5], v19, v19
	s_nop 0
	v_cndmask_b32_e32 v22, 0, v24, vcc
	v_cmp_lt_f32_e32 vcc, s15, v25
	v_lshrrev_b32_e32 v24, 16, v19
	v_lshrrev_b32_e32 v27, 16, v22
	v_cndmask_b32_e32 v23, 0, v25, vcc
	v_lshrrev_b32_e32 v25, 16, v18
	v_lshrrev_b32_e32 v26, 16, v23
	v_and_or_b32 v25, v25, 1, v18
	v_and_or_b32 v24, v24, 1, v19
	;; [unrolled: 1-line block ×4, first 2 shown]
	v_add_u32_e32 v24, 0x7fff, v24
	v_add_u32_e32 v25, 0x7fff, v25
	;; [unrolled: 1-line block ×4, first 2 shown]
	v_and_b32_e32 v25, 0xffff0000, v25
	v_and_b32_e32 v24, 0xffff0000, v24
	;; [unrolled: 1-line block ×4, first 2 shown]
	v_cmp_o_f32_e32 vcc, v18, v18
	v_cmp_o_f32_e64 s[0:1], v23, v23
	v_cmp_o_f32_e64 s[2:3], v22, v22
	v_cndmask_b32_e64 v19, v14, v24, s[4:5]
	v_cndmask_b32_e32 v23, v14, v25, vcc
	v_cndmask_b32_e64 v18, v14, v26, s[0:1]
	v_cndmask_b32_e64 v22, v14, v27, s[2:3]
	v_pk_mul_f32 v[20:21], v[22:23], v[20:21]
	v_pk_mul_f32 v[16:17], v[18:19], v[16:17]
	v_bfe_u32 v18, v20, 16, 1
	v_bfe_u32 v19, v21, 16, 1
	;; [unrolled: 1-line block ×4, first 2 shown]
	v_add3_u32 v23, v17, v23, s25
	v_add3_u32 v22, v16, v22, s25
	v_add3_u32 v19, v21, v19, s25
	v_add3_u32 v18, v20, v18, s25
	v_lshrrev_b32_e32 v18, 16, v18
	v_lshrrev_b32_e32 v19, 16, v19
	;; [unrolled: 1-line block ×4, first 2 shown]
	v_cmp_o_f32_e32 vcc, v21, v21
	v_cmp_o_f32_e64 s[0:1], v16, v16
	v_cmp_o_f32_e64 s[2:3], v17, v17
	v_cmp_o_f32_e64 s[4:5], v20, v20
	v_cndmask_b32_e32 v17, v15, v19, vcc
	v_cndmask_b32_e64 v19, v15, v23, s[2:3]
	v_cndmask_b32_e64 v16, v15, v18, s[4:5]
	;; [unrolled: 1-line block ×3, first 2 shown]
	v_perm_b32 v16, v17, v16, s26
	v_perm_b32 v17, v19, v18, s26
	global_store_dwordx2 v[6:7], v[16:17], off
	v_lshl_add_u64 v[6:7], v[6:7], 0, 8
	s_andn2_b64 exec, exec, s[22:23]
	s_cbranch_execnz .LBB14_3
; %bb.4:
	s_or_b64 exec, exec, s[22:23]
	v_cmp_ne_u64_e32 vcc, v[2:3], v[4:5]
	v_lshl_add_u64 v[0:1], v[4:5], 0, v[0:1]
	s_orn2_b64 s[0:1], vcc, exec
.LBB14_5:
	s_or_b64 exec, exec, s[20:21]
	s_and_b64 exec, exec, s[0:1]
	s_cbranch_execz .LBB14_8
; %bb.6:
	s_add_u32 s0, s10, s18
	s_addc_u32 s1, s11, s19
	s_lshl_b64 s[2:3], s[12:13], 1
	s_add_u32 s2, s0, s2
	s_addc_u32 s3, s1, s3
	s_lshl_b64 s[4:5], s[16:17], 1
	s_add_u32 s4, s8, s4
	s_mov_b32 s15, 0
	s_addc_u32 s5, s9, s5
	v_lshlrev_b64 v[2:3], 1, v[0:1]
	s_lshl_b32 s8, s14, 1
	s_mov_b32 s9, s15
	s_mov_b64 s[10:11], 0
	s_movk_i32 s6, 0x7fff
	v_mov_b32_e32 v4, 0x7fc00000
	v_mov_b32_e32 v5, 0x7fc0
.LBB14_7:                               ; =>This Inner Loop Header: Depth=1
	v_lshl_add_u64 v[6:7], s[0:1], 0, v[2:3]
	v_lshl_add_u64 v[8:9], s[2:3], 0, v[2:3]
	global_load_ushort v10, v[6:7], off
	global_load_ushort v11, v[8:9], off
	v_lshl_add_u64 v[0:1], v[0:1], 0, s[14:15]
	v_cmp_le_i64_e32 vcc, s[12:13], v[0:1]
	s_or_b64 s[10:11], vcc, s[10:11]
	v_lshl_add_u64 v[6:7], s[4:5], 0, v[2:3]
	v_lshl_add_u64 v[2:3], v[2:3], 0, s[8:9]
	s_waitcnt vmcnt(1)
	v_lshlrev_b32_e32 v8, 16, v10
	v_cmp_lt_f32_e32 vcc, s7, v8
	s_waitcnt vmcnt(0)
	v_lshlrev_b32_e32 v9, 16, v11
	v_cndmask_b32_e32 v8, 0, v8, vcc
	v_lshrrev_b32_e32 v10, 16, v8
	v_and_or_b32 v10, v10, 1, v8
	v_add_u32_e32 v10, 0x7fff, v10
	v_and_b32_e32 v10, 0xffff0000, v10
	v_cmp_o_f32_e32 vcc, v8, v8
	s_nop 1
	v_cndmask_b32_e32 v8, v4, v10, vcc
	v_mul_f32_e32 v8, v8, v9
	v_bfe_u32 v9, v8, 16, 1
	v_cmp_o_f32_e32 vcc, v8, v8
	v_add3_u32 v8, v8, v9, s6
	s_nop 0
	v_cndmask_b32_sdwa v8, v5, v8, vcc dst_sel:DWORD dst_unused:UNUSED_PAD src0_sel:DWORD src1_sel:WORD_1
	global_store_short v[6:7], v8, off
	s_andn2_b64 exec, exec, s[10:11]
	s_cbranch_execnz .LBB14_7
.LBB14_8:
	s_endpgm
	.section	.rodata,"a",@progbits
	.p2align	6, 0x0
	.amdhsa_kernel _ZN4vllm29act_and_mul_kernel_with_paramIN3c108BFloat16ETnPFT_RKS3_fEXadL_ZNS_14fatrelu_kernelIS2_EES3_S5_fEEEEvPS3_PS4_if
		.amdhsa_group_segment_fixed_size 0
		.amdhsa_private_segment_fixed_size 0
		.amdhsa_kernarg_size 280
		.amdhsa_user_sgpr_count 2
		.amdhsa_user_sgpr_dispatch_ptr 0
		.amdhsa_user_sgpr_queue_ptr 0
		.amdhsa_user_sgpr_kernarg_segment_ptr 1
		.amdhsa_user_sgpr_dispatch_id 0
		.amdhsa_user_sgpr_kernarg_preload_length 0
		.amdhsa_user_sgpr_kernarg_preload_offset 0
		.amdhsa_user_sgpr_private_segment_size 0
		.amdhsa_uses_dynamic_stack 0
		.amdhsa_enable_private_segment 0
		.amdhsa_system_sgpr_workgroup_id_x 1
		.amdhsa_system_sgpr_workgroup_id_y 0
		.amdhsa_system_sgpr_workgroup_id_z 0
		.amdhsa_system_sgpr_workgroup_info 0
		.amdhsa_system_vgpr_workitem_id 0
		.amdhsa_next_free_vgpr 28
		.amdhsa_next_free_sgpr 27
		.amdhsa_accum_offset 28
		.amdhsa_reserve_vcc 1
		.amdhsa_float_round_mode_32 0
		.amdhsa_float_round_mode_16_64 0
		.amdhsa_float_denorm_mode_32 3
		.amdhsa_float_denorm_mode_16_64 3
		.amdhsa_dx10_clamp 1
		.amdhsa_ieee_mode 1
		.amdhsa_fp16_overflow 0
		.amdhsa_tg_split 0
		.amdhsa_exception_fp_ieee_invalid_op 0
		.amdhsa_exception_fp_denorm_src 0
		.amdhsa_exception_fp_ieee_div_zero 0
		.amdhsa_exception_fp_ieee_overflow 0
		.amdhsa_exception_fp_ieee_underflow 0
		.amdhsa_exception_fp_ieee_inexact 0
		.amdhsa_exception_int_div_zero 0
	.end_amdhsa_kernel
	.section	.text._ZN4vllm29act_and_mul_kernel_with_paramIN3c108BFloat16ETnPFT_RKS3_fEXadL_ZNS_14fatrelu_kernelIS2_EES3_S5_fEEEEvPS3_PS4_if,"axG",@progbits,_ZN4vllm29act_and_mul_kernel_with_paramIN3c108BFloat16ETnPFT_RKS3_fEXadL_ZNS_14fatrelu_kernelIS2_EES3_S5_fEEEEvPS3_PS4_if,comdat
.Lfunc_end14:
	.size	_ZN4vllm29act_and_mul_kernel_with_paramIN3c108BFloat16ETnPFT_RKS3_fEXadL_ZNS_14fatrelu_kernelIS2_EES3_S5_fEEEEvPS3_PS4_if, .Lfunc_end14-_ZN4vllm29act_and_mul_kernel_with_paramIN3c108BFloat16ETnPFT_RKS3_fEXadL_ZNS_14fatrelu_kernelIS2_EES3_S5_fEEEEvPS3_PS4_if
                                        ; -- End function
	.set _ZN4vllm29act_and_mul_kernel_with_paramIN3c108BFloat16ETnPFT_RKS3_fEXadL_ZNS_14fatrelu_kernelIS2_EES3_S5_fEEEEvPS3_PS4_if.num_vgpr, 28
	.set _ZN4vllm29act_and_mul_kernel_with_paramIN3c108BFloat16ETnPFT_RKS3_fEXadL_ZNS_14fatrelu_kernelIS2_EES3_S5_fEEEEvPS3_PS4_if.num_agpr, 0
	.set _ZN4vllm29act_and_mul_kernel_with_paramIN3c108BFloat16ETnPFT_RKS3_fEXadL_ZNS_14fatrelu_kernelIS2_EES3_S5_fEEEEvPS3_PS4_if.numbered_sgpr, 27
	.set _ZN4vllm29act_and_mul_kernel_with_paramIN3c108BFloat16ETnPFT_RKS3_fEXadL_ZNS_14fatrelu_kernelIS2_EES3_S5_fEEEEvPS3_PS4_if.num_named_barrier, 0
	.set _ZN4vllm29act_and_mul_kernel_with_paramIN3c108BFloat16ETnPFT_RKS3_fEXadL_ZNS_14fatrelu_kernelIS2_EES3_S5_fEEEEvPS3_PS4_if.private_seg_size, 0
	.set _ZN4vllm29act_and_mul_kernel_with_paramIN3c108BFloat16ETnPFT_RKS3_fEXadL_ZNS_14fatrelu_kernelIS2_EES3_S5_fEEEEvPS3_PS4_if.uses_vcc, 1
	.set _ZN4vllm29act_and_mul_kernel_with_paramIN3c108BFloat16ETnPFT_RKS3_fEXadL_ZNS_14fatrelu_kernelIS2_EES3_S5_fEEEEvPS3_PS4_if.uses_flat_scratch, 0
	.set _ZN4vllm29act_and_mul_kernel_with_paramIN3c108BFloat16ETnPFT_RKS3_fEXadL_ZNS_14fatrelu_kernelIS2_EES3_S5_fEEEEvPS3_PS4_if.has_dyn_sized_stack, 0
	.set _ZN4vllm29act_and_mul_kernel_with_paramIN3c108BFloat16ETnPFT_RKS3_fEXadL_ZNS_14fatrelu_kernelIS2_EES3_S5_fEEEEvPS3_PS4_if.has_recursion, 0
	.set _ZN4vllm29act_and_mul_kernel_with_paramIN3c108BFloat16ETnPFT_RKS3_fEXadL_ZNS_14fatrelu_kernelIS2_EES3_S5_fEEEEvPS3_PS4_if.has_indirect_call, 0
	.section	.AMDGPU.csdata,"",@progbits
; Kernel info:
; codeLenInByte = 1100
; TotalNumSgprs: 33
; NumVgprs: 28
; NumAgprs: 0
; TotalNumVgprs: 28
; ScratchSize: 0
; MemoryBound: 0
; FloatMode: 240
; IeeeMode: 1
; LDSByteSize: 0 bytes/workgroup (compile time only)
; SGPRBlocks: 4
; VGPRBlocks: 3
; NumSGPRsForWavesPerEU: 33
; NumVGPRsForWavesPerEU: 28
; AccumOffset: 28
; Occupancy: 8
; WaveLimiterHint : 0
; COMPUTE_PGM_RSRC2:SCRATCH_EN: 0
; COMPUTE_PGM_RSRC2:USER_SGPR: 2
; COMPUTE_PGM_RSRC2:TRAP_HANDLER: 0
; COMPUTE_PGM_RSRC2:TGID_X_EN: 1
; COMPUTE_PGM_RSRC2:TGID_Y_EN: 0
; COMPUTE_PGM_RSRC2:TGID_Z_EN: 0
; COMPUTE_PGM_RSRC2:TIDIG_COMP_CNT: 0
; COMPUTE_PGM_RSRC3_GFX90A:ACCUM_OFFSET: 6
; COMPUTE_PGM_RSRC3_GFX90A:TG_SPLIT: 0
	.section	.text._ZN4vllm24swigluoai_and_mul_kernelIfTnPFT_RKS1_S3_ffEXadL_ZNS_17swigluoai_and_mulIfEES1_S3_S3_ffEEEEvPS1_PS2_iff,"axG",@progbits,_ZN4vllm24swigluoai_and_mul_kernelIfTnPFT_RKS1_S3_ffEXadL_ZNS_17swigluoai_and_mulIfEES1_S3_S3_ffEEEEvPS1_PS2_iff,comdat
	.protected	_ZN4vllm24swigluoai_and_mul_kernelIfTnPFT_RKS1_S3_ffEXadL_ZNS_17swigluoai_and_mulIfEES1_S3_S3_ffEEEEvPS1_PS2_iff ; -- Begin function _ZN4vllm24swigluoai_and_mul_kernelIfTnPFT_RKS1_S3_ffEXadL_ZNS_17swigluoai_and_mulIfEES1_S3_S3_ffEEEEvPS1_PS2_iff
	.globl	_ZN4vllm24swigluoai_and_mul_kernelIfTnPFT_RKS1_S3_ffEXadL_ZNS_17swigluoai_and_mulIfEES1_S3_S3_ffEEEEvPS1_PS2_iff
	.p2align	8
	.type	_ZN4vllm24swigluoai_and_mul_kernelIfTnPFT_RKS1_S3_ffEXadL_ZNS_17swigluoai_and_mulIfEES1_S3_S3_ffEEEEvPS1_PS2_iff,@function
_ZN4vllm24swigluoai_and_mul_kernelIfTnPFT_RKS1_S3_ffEXadL_ZNS_17swigluoai_and_mulIfEES1_S3_S3_ffEEEEvPS1_PS2_iff: ; @_ZN4vllm24swigluoai_and_mul_kernelIfTnPFT_RKS1_S3_ffEXadL_ZNS_17swigluoai_and_mulIfEES1_S3_S3_ffEEEEvPS1_PS2_iff
; %bb.0:
	s_load_dwordx4 s[4:7], s[0:1], 0x10
	s_waitcnt lgkmcnt(0)
	v_cmp_gt_i32_e32 vcc, s4, v0
	s_and_saveexec_b64 s[8:9], vcc
	s_cbranch_execz .LBB15_8
; %bb.1:
	v_mov_b32_e32 v1, 0
	s_load_dwordx4 s[8:11], s[0:1], 0x0
	s_load_dword s7, s[0:1], 0x2c
	s_ashr_i32 s13, s4, 31
	s_mov_b32 s12, s4
	v_add_u32_e32 v2, 1, v0
	v_mov_b32_e32 v3, v1
	v_mov_b32_e32 v4, s13
	v_cmp_lt_i64_e32 vcc, s[12:13], v[2:3]
	s_mul_hi_u32 s3, s2, s4
	s_mul_i32 s0, s2, s13
	v_cndmask_b32_e64 v3, v4, 0, vcc
	v_mov_b32_e32 v4, s4
	s_add_i32 s17, s3, s0
	s_mul_i32 s16, s2, s4
	v_cndmask_b32_e32 v2, v4, v2, vcc
	s_lshl_b64 s[14:15], s[16:17], 3
	s_waitcnt lgkmcnt(0)
	s_and_b32 s2, s7, 0xffff
	v_sub_co_u32_e32 v6, vcc, v2, v0
	s_cmp_eq_u32 s2, 1
	s_nop 0
	v_subbrev_co_u32_e32 v7, vcc, 0, v3, vcc
	v_cmp_lt_u64_e32 vcc, 1, v[6:7]
	s_cselect_b64 s[0:1], -1, 0
	s_and_b64 s[20:21], vcc, s[0:1]
	s_mov_b64 s[0:1], -1
	s_and_saveexec_b64 s[18:19], s[20:21]
	s_cbranch_execz .LBB15_5
; %bb.2:
	s_add_u32 s20, s10, s14
	s_addc_u32 s21, s11, s15
	s_lshl_b64 s[0:1], s[16:17], 2
	s_add_u32 s0, s8, s0
	v_add_u32_e32 v2, 1, v0
	v_mov_b32_e32 v3, v1
	s_addc_u32 s1, s9, s1
	v_and_b32_e32 v8, -2, v6
	v_mov_b32_e32 v9, v7
	s_xor_b32 s3, s6, 0x80000000
	v_mov_b64_e32 v[4:5], v[2:3]
	s_mov_b32 s7, s3
	s_mov_b32 s24, s6
	;; [unrolled: 1-line block ×3, first 2 shown]
	v_lshl_add_u64 v[10:11], v[0:1], 2, s[0:1]
	s_mov_b64 s[22:23], 0
	v_mov_b32_e32 v14, s3
	v_mov_b32_e32 v15, s3
	;; [unrolled: 1-line block ×4, first 2 shown]
	s_mov_b32 s25, 0x3fb8aa3b
	s_mov_b32 s26, 0xc2ce8ed0
	;; [unrolled: 1-line block ×3, first 2 shown]
	v_mov_b32_e32 v18, 0x7f800000
	v_mov_b64_e32 v[12:13], v[8:9]
	v_mov_b64_e32 v[2:3], v[0:1]
.LBB15_3:                               ; =>This Inner Loop Header: Depth=1
	v_lshl_add_u64 v[20:21], v[2:3], 3, s[20:21]
	v_lshl_add_u64 v[22:23], v[4:5], 3, s[20:21]
	global_load_dwordx2 v[24:25], v[20:21], off
	global_load_dwordx2 v[26:27], v[22:23], off
	v_lshl_add_u64 v[12:13], v[12:13], 0, -2
	v_cmp_eq_u64_e32 vcc, 0, v[12:13]
	s_or_b64 s[22:23], vcc, s[22:23]
	v_lshl_add_u64 v[4:5], v[4:5], 0, 2
	v_lshl_add_u64 v[2:3], v[2:3], 0, 2
	s_waitcnt vmcnt(1)
	v_cmp_gt_f32_e32 vcc, s3, v25
	s_waitcnt vmcnt(0)
	v_cmp_gt_f32_e64 s[0:1], s7, v27
	v_cndmask_b32_e32 v19, v25, v14, vcc
	v_cmp_lt_f32_e32 vcc, s6, v25
	v_cndmask_b32_e64 v22, v27, v15, s[0:1]
	v_cmp_lt_f32_e64 s[0:1], s24, v26
	s_nop 1
	v_cndmask_b32_e64 v21, v26, v16, s[0:1]
	v_cmp_lt_f32_e64 s[0:1], s6, v24
	s_nop 1
	v_cndmask_b32_e64 v20, v24, v17, s[0:1]
	v_cmp_lt_f32_e64 s[0:1], s24, v27
	v_pk_mul_f32 v[24:25], s[4:5], v[20:21] neg_lo:[0,1] neg_hi:[0,1]
	s_nop 0
	v_cndmask_b32_e64 v23, v22, v16, s[0:1]
	v_cndmask_b32_e32 v22, v19, v17, vcc
	v_mul_f32_e32 v19, 0x3fb8aa3b, v25
	v_mul_f32_e32 v26, 0x3fb8aa3b, v24
	v_fma_f32 v27, v25, s25, -v19
	v_rndne_f32_e32 v28, v19
	v_fma_f32 v29, v24, s25, -v26
	v_rndne_f32_e32 v30, v26
	v_fmac_f32_e32 v27, 0x32a5705f, v25
	v_sub_f32_e32 v19, v19, v28
	v_fmac_f32_e32 v29, 0x32a5705f, v24
	v_sub_f32_e32 v26, v26, v30
	v_add_f32_e32 v19, v19, v27
	v_add_f32_e32 v26, v26, v29
	v_cvt_i32_f32_e32 v28, v28
	v_cvt_i32_f32_e32 v30, v30
	v_exp_f32_e32 v19, v19
	v_exp_f32_e32 v26, v26
	v_cmp_ngt_f32_e32 vcc, s26, v24
	v_cmp_ngt_f32_e64 s[0:1], s26, v25
	v_ldexp_f32 v19, v19, v28
	v_ldexp_f32 v26, v26, v30
	v_cndmask_b32_e64 v19, 0, v19, s[0:1]
	v_cndmask_b32_e32 v26, 0, v26, vcc
	v_cmp_nlt_f32_e32 vcc, s27, v24
	v_cmp_nlt_f32_e64 s[0:1], s27, v25
	v_pk_add_f32 v[22:23], v[22:23], 1.0 op_sel_hi:[1,0]
	v_cndmask_b32_e32 v24, v18, v26, vcc
	v_cndmask_b32_e64 v25, v18, v19, s[0:1]
	v_pk_add_f32 v[24:25], v[24:25], 1.0 op_sel_hi:[1,0]
	s_nop 0
	v_div_scale_f32 v19, s[0:1], v25, v25, 1.0
	v_div_scale_f32 v27, s[0:1], v24, v24, 1.0
	v_rcp_f32_e32 v29, v19
	v_rcp_f32_e32 v30, v27
	v_div_scale_f32 v26, vcc, 1.0, v25, 1.0
	v_fma_f32 v31, -v19, v29, 1.0
	v_fma_f32 v32, -v27, v30, 1.0
	v_fmac_f32_e32 v29, v31, v29
	v_div_scale_f32 v28, s[0:1], 1.0, v24, 1.0
	v_fmac_f32_e32 v30, v32, v30
	v_mul_f32_e32 v31, v26, v29
	v_mul_f32_e32 v32, v28, v30
	v_fma_f32 v33, -v19, v31, v26
	v_fma_f32 v34, -v27, v32, v28
	v_fmac_f32_e32 v31, v33, v29
	v_fmac_f32_e32 v32, v34, v30
	v_fma_f32 v19, -v19, v31, v26
	v_fma_f32 v26, -v27, v32, v28
	v_div_fmas_f32 v19, v19, v29, v31
	s_mov_b64 vcc, s[0:1]
	v_div_fixup_f32 v25, v19, v25, 1.0
	v_div_fmas_f32 v19, v26, v30, v32
	v_div_fixup_f32 v24, v19, v24, 1.0
	v_pk_mul_f32 v[20:21], v[20:21], v[24:25]
	s_nop 0
	v_pk_mul_f32 v[20:21], v[22:23], v[20:21]
	global_store_dwordx2 v[10:11], v[20:21], off
	v_lshl_add_u64 v[10:11], v[10:11], 0, 8
	s_andn2_b64 exec, exec, s[22:23]
	s_cbranch_execnz .LBB15_3
; %bb.4:
	s_or_b64 exec, exec, s[22:23]
	v_cmp_ne_u64_e32 vcc, v[6:7], v[8:9]
	v_lshl_add_u64 v[0:1], v[8:9], 0, v[0:1]
	s_orn2_b64 s[0:1], vcc, exec
.LBB15_5:
	s_or_b64 exec, exec, s[18:19]
	s_and_b64 exec, exec, s[0:1]
	s_cbranch_execz .LBB15_8
; %bb.6:
	s_lshl_b64 s[0:1], s[16:17], 2
	s_add_u32 s0, s8, s0
	s_addc_u32 s1, s9, s1
	v_lshl_add_u64 v[2:3], v[0:1], 2, s[0:1]
	s_lshl_b32 s0, s2, 2
	s_add_u32 s8, s10, s14
	s_addc_u32 s9, s11, s15
	s_mov_b32 s3, 0
	v_lshl_add_u64 v[4:5], v[0:1], 3, s[8:9]
	s_mov_b32 s1, s3
	v_lshl_add_u64 v[4:5], v[4:5], 0, 4
	s_lshl_b32 s8, s2, 3
	s_mov_b32 s9, s3
	s_mov_b64 s[10:11], 0
	v_mov_b32_e32 v6, s6
	s_mov_b32 s4, 0x3fb8aa3b
	s_mov_b32 s7, 0xc2ce8ed0
	s_mov_b32 s14, 0x42b17218
	v_mov_b32_e32 v7, 0x7f800000
.LBB15_7:                               ; =>This Inner Loop Header: Depth=1
	global_load_dwordx2 v[8:9], v[4:5], off offset:-4
	v_lshl_add_u64 v[0:1], v[0:1], 0, s[2:3]
	v_cmp_le_i64_e32 vcc, s[12:13], v[0:1]
	s_or_b64 s[10:11], vcc, s[10:11]
	v_lshl_add_u64 v[4:5], v[4:5], 0, s[8:9]
	s_waitcnt vmcnt(0)
	v_cmp_lt_f32_e64 s[16:17], v9, -s6
	v_cmp_lt_f32_e32 vcc, s6, v8
	s_nop 0
	v_cndmask_b32_e64 v10, v9, -v6, s[16:17]
	v_cndmask_b32_e32 v8, v8, v6, vcc
	v_cmp_lt_f32_e32 vcc, s6, v9
	s_nop 1
	v_cndmask_b32_e32 v9, v10, v6, vcc
	v_mul_f32_e64 v10, s5, -v8
	v_mul_f32_e32 v11, 0x3fb8aa3b, v10
	v_fma_f32 v12, v10, s4, -v11
	v_rndne_f32_e32 v13, v11
	v_fmac_f32_e32 v12, 0x32a5705f, v10
	v_sub_f32_e32 v11, v11, v13
	v_add_f32_e32 v11, v11, v12
	v_cvt_i32_f32_e32 v13, v13
	v_exp_f32_e32 v11, v11
	v_cmp_ngt_f32_e32 vcc, s7, v10
	v_add_f32_e32 v9, 1.0, v9
	v_ldexp_f32 v11, v11, v13
	v_cndmask_b32_e32 v11, 0, v11, vcc
	v_cmp_nlt_f32_e32 vcc, s14, v10
	s_nop 1
	v_cndmask_b32_e32 v10, v7, v11, vcc
	v_add_f32_e32 v10, 1.0, v10
	v_div_scale_f32 v11, s[16:17], v10, v10, 1.0
	v_rcp_f32_e32 v12, v11
	v_div_scale_f32 v13, vcc, 1.0, v10, 1.0
	v_fma_f32 v14, -v11, v12, 1.0
	v_fmac_f32_e32 v12, v14, v12
	v_mul_f32_e32 v14, v13, v12
	v_fma_f32 v15, -v11, v14, v13
	v_fmac_f32_e32 v14, v15, v12
	v_fma_f32 v11, -v11, v14, v13
	v_div_fmas_f32 v11, v11, v12, v14
	v_div_fixup_f32 v10, v11, v10, 1.0
	v_mul_f32_e32 v8, v8, v10
	v_mul_f32_e32 v8, v9, v8
	global_store_dword v[2:3], v8, off
	v_lshl_add_u64 v[2:3], v[2:3], 0, s[0:1]
	s_andn2_b64 exec, exec, s[10:11]
	s_cbranch_execnz .LBB15_7
.LBB15_8:
	s_endpgm
	.section	.rodata,"a",@progbits
	.p2align	6, 0x0
	.amdhsa_kernel _ZN4vllm24swigluoai_and_mul_kernelIfTnPFT_RKS1_S3_ffEXadL_ZNS_17swigluoai_and_mulIfEES1_S3_S3_ffEEEEvPS1_PS2_iff
		.amdhsa_group_segment_fixed_size 0
		.amdhsa_private_segment_fixed_size 0
		.amdhsa_kernarg_size 288
		.amdhsa_user_sgpr_count 2
		.amdhsa_user_sgpr_dispatch_ptr 0
		.amdhsa_user_sgpr_queue_ptr 0
		.amdhsa_user_sgpr_kernarg_segment_ptr 1
		.amdhsa_user_sgpr_dispatch_id 0
		.amdhsa_user_sgpr_kernarg_preload_length 0
		.amdhsa_user_sgpr_kernarg_preload_offset 0
		.amdhsa_user_sgpr_private_segment_size 0
		.amdhsa_uses_dynamic_stack 0
		.amdhsa_enable_private_segment 0
		.amdhsa_system_sgpr_workgroup_id_x 1
		.amdhsa_system_sgpr_workgroup_id_y 0
		.amdhsa_system_sgpr_workgroup_id_z 0
		.amdhsa_system_sgpr_workgroup_info 0
		.amdhsa_system_vgpr_workitem_id 0
		.amdhsa_next_free_vgpr 35
		.amdhsa_next_free_sgpr 28
		.amdhsa_accum_offset 36
		.amdhsa_reserve_vcc 1
		.amdhsa_float_round_mode_32 0
		.amdhsa_float_round_mode_16_64 0
		.amdhsa_float_denorm_mode_32 3
		.amdhsa_float_denorm_mode_16_64 3
		.amdhsa_dx10_clamp 1
		.amdhsa_ieee_mode 1
		.amdhsa_fp16_overflow 0
		.amdhsa_tg_split 0
		.amdhsa_exception_fp_ieee_invalid_op 0
		.amdhsa_exception_fp_denorm_src 0
		.amdhsa_exception_fp_ieee_div_zero 0
		.amdhsa_exception_fp_ieee_overflow 0
		.amdhsa_exception_fp_ieee_underflow 0
		.amdhsa_exception_fp_ieee_inexact 0
		.amdhsa_exception_int_div_zero 0
	.end_amdhsa_kernel
	.section	.text._ZN4vllm24swigluoai_and_mul_kernelIfTnPFT_RKS1_S3_ffEXadL_ZNS_17swigluoai_and_mulIfEES1_S3_S3_ffEEEEvPS1_PS2_iff,"axG",@progbits,_ZN4vllm24swigluoai_and_mul_kernelIfTnPFT_RKS1_S3_ffEXadL_ZNS_17swigluoai_and_mulIfEES1_S3_S3_ffEEEEvPS1_PS2_iff,comdat
.Lfunc_end15:
	.size	_ZN4vllm24swigluoai_and_mul_kernelIfTnPFT_RKS1_S3_ffEXadL_ZNS_17swigluoai_and_mulIfEES1_S3_S3_ffEEEEvPS1_PS2_iff, .Lfunc_end15-_ZN4vllm24swigluoai_and_mul_kernelIfTnPFT_RKS1_S3_ffEXadL_ZNS_17swigluoai_and_mulIfEES1_S3_S3_ffEEEEvPS1_PS2_iff
                                        ; -- End function
	.set _ZN4vllm24swigluoai_and_mul_kernelIfTnPFT_RKS1_S3_ffEXadL_ZNS_17swigluoai_and_mulIfEES1_S3_S3_ffEEEEvPS1_PS2_iff.num_vgpr, 35
	.set _ZN4vllm24swigluoai_and_mul_kernelIfTnPFT_RKS1_S3_ffEXadL_ZNS_17swigluoai_and_mulIfEES1_S3_S3_ffEEEEvPS1_PS2_iff.num_agpr, 0
	.set _ZN4vllm24swigluoai_and_mul_kernelIfTnPFT_RKS1_S3_ffEXadL_ZNS_17swigluoai_and_mulIfEES1_S3_S3_ffEEEEvPS1_PS2_iff.numbered_sgpr, 28
	.set _ZN4vllm24swigluoai_and_mul_kernelIfTnPFT_RKS1_S3_ffEXadL_ZNS_17swigluoai_and_mulIfEES1_S3_S3_ffEEEEvPS1_PS2_iff.num_named_barrier, 0
	.set _ZN4vllm24swigluoai_and_mul_kernelIfTnPFT_RKS1_S3_ffEXadL_ZNS_17swigluoai_and_mulIfEES1_S3_S3_ffEEEEvPS1_PS2_iff.private_seg_size, 0
	.set _ZN4vllm24swigluoai_and_mul_kernelIfTnPFT_RKS1_S3_ffEXadL_ZNS_17swigluoai_and_mulIfEES1_S3_S3_ffEEEEvPS1_PS2_iff.uses_vcc, 1
	.set _ZN4vllm24swigluoai_and_mul_kernelIfTnPFT_RKS1_S3_ffEXadL_ZNS_17swigluoai_and_mulIfEES1_S3_S3_ffEEEEvPS1_PS2_iff.uses_flat_scratch, 0
	.set _ZN4vllm24swigluoai_and_mul_kernelIfTnPFT_RKS1_S3_ffEXadL_ZNS_17swigluoai_and_mulIfEES1_S3_S3_ffEEEEvPS1_PS2_iff.has_dyn_sized_stack, 0
	.set _ZN4vllm24swigluoai_and_mul_kernelIfTnPFT_RKS1_S3_ffEXadL_ZNS_17swigluoai_and_mulIfEES1_S3_S3_ffEEEEvPS1_PS2_iff.has_recursion, 0
	.set _ZN4vllm24swigluoai_and_mul_kernelIfTnPFT_RKS1_S3_ffEXadL_ZNS_17swigluoai_and_mulIfEES1_S3_S3_ffEEEEvPS1_PS2_iff.has_indirect_call, 0
	.section	.AMDGPU.csdata,"",@progbits
; Kernel info:
; codeLenInByte = 1228
; TotalNumSgprs: 34
; NumVgprs: 35
; NumAgprs: 0
; TotalNumVgprs: 35
; ScratchSize: 0
; MemoryBound: 0
; FloatMode: 240
; IeeeMode: 1
; LDSByteSize: 0 bytes/workgroup (compile time only)
; SGPRBlocks: 4
; VGPRBlocks: 4
; NumSGPRsForWavesPerEU: 34
; NumVGPRsForWavesPerEU: 35
; AccumOffset: 36
; Occupancy: 8
; WaveLimiterHint : 0
; COMPUTE_PGM_RSRC2:SCRATCH_EN: 0
; COMPUTE_PGM_RSRC2:USER_SGPR: 2
; COMPUTE_PGM_RSRC2:TRAP_HANDLER: 0
; COMPUTE_PGM_RSRC2:TGID_X_EN: 1
; COMPUTE_PGM_RSRC2:TGID_Y_EN: 0
; COMPUTE_PGM_RSRC2:TGID_Z_EN: 0
; COMPUTE_PGM_RSRC2:TIDIG_COMP_CNT: 0
; COMPUTE_PGM_RSRC3_GFX90A:ACCUM_OFFSET: 8
; COMPUTE_PGM_RSRC3_GFX90A:TG_SPLIT: 0
	.section	.text._ZN4vllm24swigluoai_and_mul_kernelIN3c104HalfETnPFT_RKS3_S5_ffEXadL_ZNS_17swigluoai_and_mulIS2_EES3_S5_S5_ffEEEEvPS3_PS4_iff,"axG",@progbits,_ZN4vllm24swigluoai_and_mul_kernelIN3c104HalfETnPFT_RKS3_S5_ffEXadL_ZNS_17swigluoai_and_mulIS2_EES3_S5_S5_ffEEEEvPS3_PS4_iff,comdat
	.protected	_ZN4vllm24swigluoai_and_mul_kernelIN3c104HalfETnPFT_RKS3_S5_ffEXadL_ZNS_17swigluoai_and_mulIS2_EES3_S5_S5_ffEEEEvPS3_PS4_iff ; -- Begin function _ZN4vllm24swigluoai_and_mul_kernelIN3c104HalfETnPFT_RKS3_S5_ffEXadL_ZNS_17swigluoai_and_mulIS2_EES3_S5_S5_ffEEEEvPS3_PS4_iff
	.globl	_ZN4vllm24swigluoai_and_mul_kernelIN3c104HalfETnPFT_RKS3_S5_ffEXadL_ZNS_17swigluoai_and_mulIS2_EES3_S5_S5_ffEEEEvPS3_PS4_iff
	.p2align	8
	.type	_ZN4vllm24swigluoai_and_mul_kernelIN3c104HalfETnPFT_RKS3_S5_ffEXadL_ZNS_17swigluoai_and_mulIS2_EES3_S5_S5_ffEEEEvPS3_PS4_iff,@function
_ZN4vllm24swigluoai_and_mul_kernelIN3c104HalfETnPFT_RKS3_S5_ffEXadL_ZNS_17swigluoai_and_mulIS2_EES3_S5_S5_ffEEEEvPS3_PS4_iff: ; @_ZN4vllm24swigluoai_and_mul_kernelIN3c104HalfETnPFT_RKS3_S5_ffEXadL_ZNS_17swigluoai_and_mulIS2_EES3_S5_S5_ffEEEEvPS3_PS4_iff
; %bb.0:
	s_load_dwordx4 s[8:11], s[0:1], 0x10
	s_waitcnt lgkmcnt(0)
	v_cmp_gt_i32_e32 vcc, s8, v0
	s_and_saveexec_b64 s[4:5], vcc
	s_cbranch_execz .LBB16_8
; %bb.1:
	v_mov_b32_e32 v1, 0
	s_load_dwordx4 s[12:15], s[0:1], 0x0
	s_load_dword s4, s[0:1], 0x2c
	s_ashr_i32 s7, s8, 31
	s_mov_b32 s6, s8
	v_add_u32_e32 v2, 1, v0
	v_mov_b32_e32 v3, v1
	v_mov_b32_e32 v4, s7
	v_cmp_lt_i64_e32 vcc, s[6:7], v[2:3]
	s_mul_hi_u32 s3, s2, s8
	s_mul_i32 s0, s2, s7
	v_cndmask_b32_e64 v3, v4, 0, vcc
	v_mov_b32_e32 v4, s8
	s_add_i32 s21, s3, s0
	s_mul_i32 s20, s2, s8
	v_cndmask_b32_e32 v2, v4, v2, vcc
	s_lshl_b64 s[18:19], s[20:21], 2
	s_waitcnt lgkmcnt(0)
	s_and_b32 s16, s4, 0xffff
	v_sub_co_u32_e32 v10, vcc, v2, v0
	s_cmp_eq_u32 s16, 1
	s_nop 0
	v_subbrev_co_u32_e32 v11, vcc, 0, v3, vcc
	v_cmp_lt_u64_e32 vcc, 3, v[10:11]
	s_cselect_b64 s[0:1], -1, 0
	s_and_b64 s[2:3], vcc, s[0:1]
	s_mov_b64 s[0:1], -1
	s_and_saveexec_b64 s[22:23], s[2:3]
	s_cbranch_execz .LBB16_5
; %bb.2:
	s_add_u32 s24, s14, s18
	s_addc_u32 s25, s15, s19
	s_lshl_b64 s[0:1], s[20:21], 1
	s_add_u32 s0, s12, s0
	v_add_u32_e32 v2, 1, v0
	v_add_u32_e32 v4, 2, v0
	;; [unrolled: 1-line block ×3, first 2 shown]
	v_mov_b32_e32 v3, v1
	v_mov_b32_e32 v5, v1
	v_mov_b32_e32 v7, v1
	s_addc_u32 s1, s13, s1
	v_and_b32_e32 v12, -4, v10
	v_mov_b32_e32 v13, v11
	s_xor_b32 s8, s10, 0x80000000
	v_mov_b64_e32 v[8:9], v[6:7]
	s_mov_b32 s11, s8
	s_mov_b32 s17, s8
	;; [unrolled: 1-line block ×11, first 2 shown]
	v_lshl_add_u64 v[14:15], v[0:1], 1, s[0:1]
	s_mov_b64 s[30:31], 0
	s_mov_b32 s38, 0x5040100
	s_mov_b32 s39, 0x7060302
	v_mov_b32_e32 v26, s8
	v_mov_b32_e32 v27, s8
	;; [unrolled: 1-line block ×8, first 2 shown]
	s_mov_b32 s40, 0x3fb8aa3b
	s_mov_b32 s41, 0xc2ce8ed0
	;; [unrolled: 1-line block ×3, first 2 shown]
	v_mov_b32_e32 v34, 0x7f800000
	v_mov_b64_e32 v[16:17], v[12:13]
	v_mov_b64_e32 v[6:7], v[4:5]
	;; [unrolled: 1-line block ×4, first 2 shown]
.LBB16_3:                               ; =>This Inner Loop Header: Depth=1
	v_lshl_add_u64 v[18:19], v[2:3], 2, s[24:25]
	v_lshl_add_u64 v[20:21], v[4:5], 2, s[24:25]
	;; [unrolled: 1-line block ×4, first 2 shown]
	global_load_dword v35, v[18:19], off
	global_load_dword v36, v[20:21], off
	;; [unrolled: 1-line block ×4, first 2 shown]
	v_lshl_add_u64 v[16:17], v[16:17], 0, -4
	v_cmp_eq_u64_e32 vcc, 0, v[16:17]
	s_or_b64 s[30:31], vcc, s[30:31]
	v_lshl_add_u64 v[8:9], v[8:9], 0, 4
	v_lshl_add_u64 v[6:7], v[6:7], 0, 4
	;; [unrolled: 1-line block ×4, first 2 shown]
	s_waitcnt vmcnt(3)
	v_cvt_f32_f16_sdwa v23, v35 dst_sel:DWORD dst_unused:UNUSED_PAD src0_sel:WORD_1
	s_waitcnt vmcnt(2)
	v_perm_b32 v18, v36, v35, s38
	s_waitcnt vmcnt(1)
	v_cvt_f32_f16_e32 v20, v37
	s_waitcnt vmcnt(0)
	v_cvt_f32_f16_e32 v21, v38
	v_cvt_f32_f16_sdwa v24, v37 dst_sel:DWORD dst_unused:UNUSED_PAD src0_sel:WORD_1
	v_cvt_f32_f16_sdwa v25, v38 dst_sel:DWORD dst_unused:UNUSED_PAD src0_sel:WORD_1
	v_cvt_f32_f16_e32 v22, v35
	v_perm_b32 v19, v36, v35, s39
	v_cvt_f32_f16_sdwa v35, v18 dst_sel:DWORD dst_unused:UNUSED_PAD src0_sel:WORD_1
	v_cvt_f32_f16_sdwa v37, v19 dst_sel:DWORD dst_unused:UNUSED_PAD src0_sel:WORD_1
	v_cmp_lt_f32_e64 s[4:5], s36, v20
	v_cmp_gt_f32_e32 vcc, s17, v24
	v_cmp_gt_f32_e64 s[0:1], s33, v25
	v_cmp_gt_f32_e64 s[2:3], s8, v23
	v_cndmask_b32_e64 v18, v20, v33, s[4:5]
	v_cmp_lt_f32_e64 s[4:5], s37, v21
	v_cndmask_b32_e32 v36, v24, v27, vcc
	v_cmp_lt_f32_e32 vcc, s36, v24
	v_cndmask_b32_e64 v24, v25, v28, s[0:1]
	v_cmp_lt_f32_e64 s[0:1], s37, v25
	v_cndmask_b32_e64 v25, v23, v29, s[2:3]
	v_cmp_lt_f32_e64 s[2:3], s34, v23
	;; [unrolled: 2-line block ×3, first 2 shown]
	v_xor_b32_e32 v39, 0x80000000, v19
	v_xor_b32_e32 v38, 0x80000000, v18
	v_cndmask_b32_e64 v20, v22, v31, s[4:5]
	v_cndmask_b32_e64 v22, v25, v31, s[2:3]
	;; [unrolled: 1-line block ×3, first 2 shown]
	v_cndmask_b32_e32 v24, v36, v33, vcc
	v_cmp_lt_f32_e32 vcc, s35, v35
	v_cmp_gt_f32_e64 s[4:5], s11, v37
	v_xor_b32_e32 v36, 0x80000000, v20
	v_cndmask_b32_e32 v21, v35, v30, vcc
	v_cndmask_b32_e64 v23, v37, v26, s[4:5]
	v_cmp_lt_f32_e32 vcc, s35, v37
	v_xor_b32_e32 v37, 0x80000000, v21
	v_pk_mul_f32 v[38:39], s[28:29], v[38:39]
	v_pk_mul_f32 v[36:37], s[26:27], v[36:37]
	v_mul_f32_e32 v35, 0x3fb8aa3b, v39
	v_mul_f32_e32 v40, 0x3fb8aa3b, v38
	;; [unrolled: 1-line block ×4, first 2 shown]
	v_fma_f32 v43, v39, s40, -v35
	v_rndne_f32_e32 v44, v35
	v_fma_f32 v45, v38, s40, -v40
	v_rndne_f32_e32 v46, v40
	;; [unrolled: 2-line block ×4, first 2 shown]
	v_fmac_f32_e32 v43, 0x32a5705f, v39
	v_sub_f32_e32 v35, v35, v44
	v_fmac_f32_e32 v45, 0x32a5705f, v38
	v_sub_f32_e32 v40, v40, v46
	;; [unrolled: 2-line block ×4, first 2 shown]
	v_add_f32_e32 v35, v35, v43
	v_cvt_i32_f32_e32 v44, v44
	v_add_f32_e32 v40, v40, v45
	v_add_f32_e32 v41, v41, v47
	;; [unrolled: 1-line block ×3, first 2 shown]
	v_exp_f32_e32 v35, v35
	v_cvt_i32_f32_e32 v46, v46
	v_cvt_i32_f32_e32 v48, v48
	;; [unrolled: 1-line block ×3, first 2 shown]
	v_exp_f32_e32 v40, v40
	v_exp_f32_e32 v41, v41
	;; [unrolled: 1-line block ×3, first 2 shown]
	v_cndmask_b32_e32 v23, v23, v30, vcc
	v_ldexp_f32 v35, v35, v44
	v_cmp_ngt_f32_e32 vcc, s41, v39
	v_ldexp_f32 v40, v40, v46
	v_cmp_ngt_f32_e64 s[0:1], s41, v38
	v_ldexp_f32 v41, v41, v48
	v_ldexp_f32 v42, v42, v50
	v_cmp_ngt_f32_e64 s[2:3], s41, v36
	v_cndmask_b32_e32 v35, 0, v35, vcc
	v_cmp_nlt_f32_e32 vcc, s42, v39
	v_cmp_ngt_f32_e64 s[4:5], s41, v37
	v_cndmask_b32_e64 v40, 0, v40, s[0:1]
	v_cmp_nlt_f32_e64 s[0:1], s42, v38
	v_cndmask_b32_e64 v41, 0, v41, s[4:5]
	v_cndmask_b32_e64 v42, 0, v42, s[2:3]
	v_cmp_nlt_f32_e64 s[2:3], s42, v36
	v_cndmask_b32_e32 v39, v34, v35, vcc
	v_cmp_nlt_f32_e32 vcc, s42, v37
	v_cndmask_b32_e64 v38, v34, v40, s[0:1]
	v_cndmask_b32_e64 v36, v34, v42, s[2:3]
	v_cndmask_b32_e32 v37, v34, v41, vcc
	v_pk_add_f32 v[38:39], v[38:39], 1.0 op_sel_hi:[1,0]
	v_pk_add_f32 v[36:37], v[36:37], 1.0 op_sel_hi:[1,0]
	v_div_scale_f32 v35, s[0:1], v39, v39, 1.0
	v_div_scale_f32 v41, s[2:3], v38, v38, 1.0
	;; [unrolled: 1-line block ×4, first 2 shown]
	v_rcp_f32_e32 v47, v35
	v_rcp_f32_e32 v48, v41
	v_rcp_f32_e32 v49, v43
	v_rcp_f32_e32 v50, v45
	v_fma_f32 v51, -v35, v47, 1.0
	v_fma_f32 v52, -v41, v48, 1.0
	;; [unrolled: 1-line block ×3, first 2 shown]
	v_div_scale_f32 v40, s[0:1], 1.0, v39, 1.0
	v_div_scale_f32 v42, s[2:3], 1.0, v38, 1.0
	v_div_scale_f32 v44, vcc, 1.0, v37, 1.0
	v_fma_f32 v54, -v45, v50, 1.0
	v_fmac_f32_e32 v47, v51, v47
	v_fmac_f32_e32 v48, v52, v48
	;; [unrolled: 1-line block ×3, first 2 shown]
	v_div_scale_f32 v46, s[4:5], 1.0, v36, 1.0
	v_fmac_f32_e32 v50, v54, v50
	v_mul_f32_e32 v51, v40, v47
	v_mul_f32_e32 v52, v42, v48
	;; [unrolled: 1-line block ×4, first 2 shown]
	v_fma_f32 v55, -v35, v51, v40
	v_fma_f32 v56, -v41, v52, v42
	;; [unrolled: 1-line block ×4, first 2 shown]
	v_fmac_f32_e32 v51, v55, v47
	v_fmac_f32_e32 v52, v56, v48
	;; [unrolled: 1-line block ×4, first 2 shown]
	v_fma_f32 v35, -v35, v51, v40
	v_fma_f32 v40, -v41, v52, v42
	;; [unrolled: 1-line block ×4, first 2 shown]
	v_div_fmas_f32 v41, v41, v49, v53
	s_mov_b64 vcc, s[4:5]
	v_div_fixup_f32 v37, v41, v37, 1.0
	v_div_fmas_f32 v41, v42, v50, v54
	s_mov_b64 vcc, s[0:1]
	v_div_fmas_f32 v35, v35, v47, v51
	s_mov_b64 vcc, s[2:3]
	v_div_fixup_f32 v39, v35, v39, 1.0
	v_div_fmas_f32 v35, v40, v48, v52
	v_div_fixup_f32 v36, v41, v36, 1.0
	v_div_fixup_f32 v38, v35, v38, 1.0
	v_pk_add_f32 v[24:25], v[24:25], 1.0 op_sel_hi:[1,0]
	v_pk_add_f32 v[22:23], v[22:23], 1.0 op_sel_hi:[1,0]
	v_pk_mul_f32 v[20:21], v[20:21], v[36:37]
	v_pk_mul_f32 v[18:19], v[18:19], v[38:39]
	;; [unrolled: 1-line block ×4, first 2 shown]
	v_cvt_pk_f16_f32 v20, v20, v21
	v_cvt_pk_f16_f32 v21, v18, v19
	global_store_dwordx2 v[14:15], v[20:21], off
	v_lshl_add_u64 v[14:15], v[14:15], 0, 8
	s_andn2_b64 exec, exec, s[30:31]
	s_cbranch_execnz .LBB16_3
; %bb.4:
	s_or_b64 exec, exec, s[30:31]
	v_cmp_ne_u64_e32 vcc, v[10:11], v[12:13]
	v_lshl_add_u64 v[0:1], v[12:13], 0, v[0:1]
	s_orn2_b64 s[0:1], vcc, exec
.LBB16_5:
	s_or_b64 exec, exec, s[22:23]
	s_and_b64 exec, exec, s[0:1]
	s_cbranch_execz .LBB16_8
; %bb.6:
	s_lshl_b64 s[0:1], s[20:21], 1
	s_add_u32 s0, s12, s0
	s_addc_u32 s1, s13, s1
	v_lshl_add_u64 v[2:3], v[0:1], 1, s[0:1]
	s_lshl_b32 s0, s16, 1
	s_add_u32 s2, s14, s18
	s_addc_u32 s3, s15, s19
	s_mov_b32 s17, 0
	v_lshl_add_u64 v[4:5], v[0:1], 2, s[2:3]
	s_mov_b32 s1, s17
	v_lshl_add_u64 v[4:5], v[4:5], 0, 2
	s_lshl_b32 s2, s16, 2
	s_mov_b32 s3, s17
	s_mov_b64 s[4:5], 0
	v_mov_b32_e32 v6, s10
	s_mov_b32 s8, 0x3fb8aa3b
	s_mov_b32 s11, 0xc2ce8ed0
	;; [unrolled: 1-line block ×3, first 2 shown]
	v_mov_b32_e32 v7, 0x7f800000
.LBB16_7:                               ; =>This Inner Loop Header: Depth=1
	global_load_dword v8, v[4:5], off offset:-2
	v_lshl_add_u64 v[0:1], v[0:1], 0, s[16:17]
	v_cmp_le_i64_e32 vcc, s[6:7], v[0:1]
	s_or_b64 s[4:5], vcc, s[4:5]
	v_lshl_add_u64 v[4:5], v[4:5], 0, s[2:3]
	s_waitcnt vmcnt(0)
	v_cvt_f32_f16_sdwa v9, v8 dst_sel:DWORD dst_unused:UNUSED_PAD src0_sel:WORD_1
	v_cvt_f32_f16_e32 v8, v8
	v_cmp_lt_f32_e64 s[14:15], v9, -s10
	v_cmp_lt_f32_e32 vcc, s10, v8
	s_nop 0
	v_cndmask_b32_e64 v10, v9, -v6, s[14:15]
	v_cndmask_b32_e32 v8, v8, v6, vcc
	v_cmp_lt_f32_e32 vcc, s10, v9
	s_nop 1
	v_cndmask_b32_e32 v9, v10, v6, vcc
	v_mul_f32_e64 v10, s9, -v8
	v_mul_f32_e32 v11, 0x3fb8aa3b, v10
	v_fma_f32 v12, v10, s8, -v11
	v_rndne_f32_e32 v13, v11
	v_fmac_f32_e32 v12, 0x32a5705f, v10
	v_sub_f32_e32 v11, v11, v13
	v_add_f32_e32 v11, v11, v12
	v_cvt_i32_f32_e32 v13, v13
	v_exp_f32_e32 v11, v11
	v_cmp_ngt_f32_e32 vcc, s11, v10
	v_add_f32_e32 v9, 1.0, v9
	v_ldexp_f32 v11, v11, v13
	v_cndmask_b32_e32 v11, 0, v11, vcc
	v_cmp_nlt_f32_e32 vcc, s12, v10
	s_nop 1
	v_cndmask_b32_e32 v10, v7, v11, vcc
	v_add_f32_e32 v10, 1.0, v10
	v_div_scale_f32 v11, s[14:15], v10, v10, 1.0
	v_rcp_f32_e32 v12, v11
	v_div_scale_f32 v13, vcc, 1.0, v10, 1.0
	v_fma_f32 v14, -v11, v12, 1.0
	v_fmac_f32_e32 v12, v14, v12
	v_mul_f32_e32 v14, v13, v12
	v_fma_f32 v15, -v11, v14, v13
	v_fmac_f32_e32 v14, v15, v12
	v_fma_f32 v11, -v11, v14, v13
	v_div_fmas_f32 v11, v11, v12, v14
	v_div_fixup_f32 v10, v11, v10, 1.0
	v_mul_f32_e32 v8, v8, v10
	v_fma_mixlo_f16 v8, v9, v8, 0
	global_store_short v[2:3], v8, off
	v_lshl_add_u64 v[2:3], v[2:3], 0, s[0:1]
	s_andn2_b64 exec, exec, s[4:5]
	s_cbranch_execnz .LBB16_7
.LBB16_8:
	s_endpgm
	.section	.rodata,"a",@progbits
	.p2align	6, 0x0
	.amdhsa_kernel _ZN4vllm24swigluoai_and_mul_kernelIN3c104HalfETnPFT_RKS3_S5_ffEXadL_ZNS_17swigluoai_and_mulIS2_EES3_S5_S5_ffEEEEvPS3_PS4_iff
		.amdhsa_group_segment_fixed_size 0
		.amdhsa_private_segment_fixed_size 0
		.amdhsa_kernarg_size 288
		.amdhsa_user_sgpr_count 2
		.amdhsa_user_sgpr_dispatch_ptr 0
		.amdhsa_user_sgpr_queue_ptr 0
		.amdhsa_user_sgpr_kernarg_segment_ptr 1
		.amdhsa_user_sgpr_dispatch_id 0
		.amdhsa_user_sgpr_kernarg_preload_length 0
		.amdhsa_user_sgpr_kernarg_preload_offset 0
		.amdhsa_user_sgpr_private_segment_size 0
		.amdhsa_uses_dynamic_stack 0
		.amdhsa_enable_private_segment 0
		.amdhsa_system_sgpr_workgroup_id_x 1
		.amdhsa_system_sgpr_workgroup_id_y 0
		.amdhsa_system_sgpr_workgroup_id_z 0
		.amdhsa_system_sgpr_workgroup_info 0
		.amdhsa_system_vgpr_workitem_id 0
		.amdhsa_next_free_vgpr 59
		.amdhsa_next_free_sgpr 43
		.amdhsa_accum_offset 60
		.amdhsa_reserve_vcc 1
		.amdhsa_float_round_mode_32 0
		.amdhsa_float_round_mode_16_64 0
		.amdhsa_float_denorm_mode_32 3
		.amdhsa_float_denorm_mode_16_64 3
		.amdhsa_dx10_clamp 1
		.amdhsa_ieee_mode 1
		.amdhsa_fp16_overflow 0
		.amdhsa_tg_split 0
		.amdhsa_exception_fp_ieee_invalid_op 0
		.amdhsa_exception_fp_denorm_src 0
		.amdhsa_exception_fp_ieee_div_zero 0
		.amdhsa_exception_fp_ieee_overflow 0
		.amdhsa_exception_fp_ieee_underflow 0
		.amdhsa_exception_fp_ieee_inexact 0
		.amdhsa_exception_int_div_zero 0
	.end_amdhsa_kernel
	.section	.text._ZN4vllm24swigluoai_and_mul_kernelIN3c104HalfETnPFT_RKS3_S5_ffEXadL_ZNS_17swigluoai_and_mulIS2_EES3_S5_S5_ffEEEEvPS3_PS4_iff,"axG",@progbits,_ZN4vllm24swigluoai_and_mul_kernelIN3c104HalfETnPFT_RKS3_S5_ffEXadL_ZNS_17swigluoai_and_mulIS2_EES3_S5_S5_ffEEEEvPS3_PS4_iff,comdat
.Lfunc_end16:
	.size	_ZN4vllm24swigluoai_and_mul_kernelIN3c104HalfETnPFT_RKS3_S5_ffEXadL_ZNS_17swigluoai_and_mulIS2_EES3_S5_S5_ffEEEEvPS3_PS4_iff, .Lfunc_end16-_ZN4vllm24swigluoai_and_mul_kernelIN3c104HalfETnPFT_RKS3_S5_ffEXadL_ZNS_17swigluoai_and_mulIS2_EES3_S5_S5_ffEEEEvPS3_PS4_iff
                                        ; -- End function
	.set _ZN4vllm24swigluoai_and_mul_kernelIN3c104HalfETnPFT_RKS3_S5_ffEXadL_ZNS_17swigluoai_and_mulIS2_EES3_S5_S5_ffEEEEvPS3_PS4_iff.num_vgpr, 59
	.set _ZN4vllm24swigluoai_and_mul_kernelIN3c104HalfETnPFT_RKS3_S5_ffEXadL_ZNS_17swigluoai_and_mulIS2_EES3_S5_S5_ffEEEEvPS3_PS4_iff.num_agpr, 0
	.set _ZN4vllm24swigluoai_and_mul_kernelIN3c104HalfETnPFT_RKS3_S5_ffEXadL_ZNS_17swigluoai_and_mulIS2_EES3_S5_S5_ffEEEEvPS3_PS4_iff.numbered_sgpr, 43
	.set _ZN4vllm24swigluoai_and_mul_kernelIN3c104HalfETnPFT_RKS3_S5_ffEXadL_ZNS_17swigluoai_and_mulIS2_EES3_S5_S5_ffEEEEvPS3_PS4_iff.num_named_barrier, 0
	.set _ZN4vllm24swigluoai_and_mul_kernelIN3c104HalfETnPFT_RKS3_S5_ffEXadL_ZNS_17swigluoai_and_mulIS2_EES3_S5_S5_ffEEEEvPS3_PS4_iff.private_seg_size, 0
	.set _ZN4vllm24swigluoai_and_mul_kernelIN3c104HalfETnPFT_RKS3_S5_ffEXadL_ZNS_17swigluoai_and_mulIS2_EES3_S5_S5_ffEEEEvPS3_PS4_iff.uses_vcc, 1
	.set _ZN4vllm24swigluoai_and_mul_kernelIN3c104HalfETnPFT_RKS3_S5_ffEXadL_ZNS_17swigluoai_and_mulIS2_EES3_S5_S5_ffEEEEvPS3_PS4_iff.uses_flat_scratch, 0
	.set _ZN4vllm24swigluoai_and_mul_kernelIN3c104HalfETnPFT_RKS3_S5_ffEXadL_ZNS_17swigluoai_and_mulIS2_EES3_S5_S5_ffEEEEvPS3_PS4_iff.has_dyn_sized_stack, 0
	.set _ZN4vllm24swigluoai_and_mul_kernelIN3c104HalfETnPFT_RKS3_S5_ffEXadL_ZNS_17swigluoai_and_mulIS2_EES3_S5_S5_ffEEEEvPS3_PS4_iff.has_recursion, 0
	.set _ZN4vllm24swigluoai_and_mul_kernelIN3c104HalfETnPFT_RKS3_S5_ffEXadL_ZNS_17swigluoai_and_mulIS2_EES3_S5_S5_ffEEEEvPS3_PS4_iff.has_indirect_call, 0
	.section	.AMDGPU.csdata,"",@progbits
; Kernel info:
; codeLenInByte = 1916
; TotalNumSgprs: 49
; NumVgprs: 59
; NumAgprs: 0
; TotalNumVgprs: 59
; ScratchSize: 0
; MemoryBound: 0
; FloatMode: 240
; IeeeMode: 1
; LDSByteSize: 0 bytes/workgroup (compile time only)
; SGPRBlocks: 6
; VGPRBlocks: 7
; NumSGPRsForWavesPerEU: 49
; NumVGPRsForWavesPerEU: 59
; AccumOffset: 60
; Occupancy: 8
; WaveLimiterHint : 0
; COMPUTE_PGM_RSRC2:SCRATCH_EN: 0
; COMPUTE_PGM_RSRC2:USER_SGPR: 2
; COMPUTE_PGM_RSRC2:TRAP_HANDLER: 0
; COMPUTE_PGM_RSRC2:TGID_X_EN: 1
; COMPUTE_PGM_RSRC2:TGID_Y_EN: 0
; COMPUTE_PGM_RSRC2:TGID_Z_EN: 0
; COMPUTE_PGM_RSRC2:TIDIG_COMP_CNT: 0
; COMPUTE_PGM_RSRC3_GFX90A:ACCUM_OFFSET: 14
; COMPUTE_PGM_RSRC3_GFX90A:TG_SPLIT: 0
	.section	.text._ZN4vllm24swigluoai_and_mul_kernelIN3c108BFloat16ETnPFT_RKS3_S5_ffEXadL_ZNS_17swigluoai_and_mulIS2_EES3_S5_S5_ffEEEEvPS3_PS4_iff,"axG",@progbits,_ZN4vllm24swigluoai_and_mul_kernelIN3c108BFloat16ETnPFT_RKS3_S5_ffEXadL_ZNS_17swigluoai_and_mulIS2_EES3_S5_S5_ffEEEEvPS3_PS4_iff,comdat
	.protected	_ZN4vllm24swigluoai_and_mul_kernelIN3c108BFloat16ETnPFT_RKS3_S5_ffEXadL_ZNS_17swigluoai_and_mulIS2_EES3_S5_S5_ffEEEEvPS3_PS4_iff ; -- Begin function _ZN4vllm24swigluoai_and_mul_kernelIN3c108BFloat16ETnPFT_RKS3_S5_ffEXadL_ZNS_17swigluoai_and_mulIS2_EES3_S5_S5_ffEEEEvPS3_PS4_iff
	.globl	_ZN4vllm24swigluoai_and_mul_kernelIN3c108BFloat16ETnPFT_RKS3_S5_ffEXadL_ZNS_17swigluoai_and_mulIS2_EES3_S5_S5_ffEEEEvPS3_PS4_iff
	.p2align	8
	.type	_ZN4vllm24swigluoai_and_mul_kernelIN3c108BFloat16ETnPFT_RKS3_S5_ffEXadL_ZNS_17swigluoai_and_mulIS2_EES3_S5_S5_ffEEEEvPS3_PS4_iff,@function
_ZN4vllm24swigluoai_and_mul_kernelIN3c108BFloat16ETnPFT_RKS3_S5_ffEXadL_ZNS_17swigluoai_and_mulIS2_EES3_S5_S5_ffEEEEvPS3_PS4_iff: ; @_ZN4vllm24swigluoai_and_mul_kernelIN3c108BFloat16ETnPFT_RKS3_S5_ffEXadL_ZNS_17swigluoai_and_mulIS2_EES3_S5_S5_ffEEEEvPS3_PS4_iff
; %bb.0:
	s_load_dwordx4 s[8:11], s[0:1], 0x10
	s_waitcnt lgkmcnt(0)
	v_cmp_gt_i32_e32 vcc, s8, v0
	s_and_saveexec_b64 s[4:5], vcc
	s_cbranch_execz .LBB17_8
; %bb.1:
	v_mov_b32_e32 v1, 0
	s_load_dwordx4 s[12:15], s[0:1], 0x0
	s_load_dword s4, s[0:1], 0x2c
	s_ashr_i32 s7, s8, 31
	s_mov_b32 s6, s8
	v_add_u32_e32 v2, 1, v0
	v_mov_b32_e32 v3, v1
	v_mov_b32_e32 v4, s7
	v_cmp_lt_i64_e32 vcc, s[6:7], v[2:3]
	s_mul_hi_u32 s3, s2, s8
	s_mul_i32 s0, s2, s7
	v_cndmask_b32_e64 v3, v4, 0, vcc
	v_mov_b32_e32 v4, s8
	s_add_i32 s21, s3, s0
	s_mul_i32 s20, s2, s8
	v_cndmask_b32_e32 v2, v4, v2, vcc
	s_lshl_b64 s[18:19], s[20:21], 2
	s_waitcnt lgkmcnt(0)
	s_and_b32 s16, s4, 0xffff
	v_sub_co_u32_e32 v10, vcc, v2, v0
	s_cmp_eq_u32 s16, 1
	s_nop 0
	v_subbrev_co_u32_e32 v11, vcc, 0, v3, vcc
	v_cmp_lt_u64_e32 vcc, 3, v[10:11]
	s_cselect_b64 s[0:1], -1, 0
	s_and_b64 s[2:3], vcc, s[0:1]
	s_mov_b64 s[0:1], -1
	s_and_saveexec_b64 s[22:23], s[2:3]
	s_cbranch_execz .LBB17_5
; %bb.2:
	s_add_u32 s24, s14, s18
	s_addc_u32 s25, s15, s19
	s_lshl_b64 s[0:1], s[20:21], 1
	s_add_u32 s0, s12, s0
	v_add_u32_e32 v2, 1, v0
	v_add_u32_e32 v4, 2, v0
	;; [unrolled: 1-line block ×3, first 2 shown]
	v_mov_b32_e32 v3, v1
	v_mov_b32_e32 v5, v1
	;; [unrolled: 1-line block ×3, first 2 shown]
	s_addc_u32 s1, s13, s1
	v_and_b32_e32 v12, -4, v10
	v_mov_b32_e32 v13, v11
	s_xor_b32 s8, s10, 0x80000000
	v_mov_b64_e32 v[8:9], v[6:7]
	s_mov_b32 s11, s8
	s_mov_b32 s17, s8
	;; [unrolled: 1-line block ×11, first 2 shown]
	v_lshl_add_u64 v[14:15], v[0:1], 1, s[0:1]
	s_mov_b64 s[30:31], 0
	v_mov_b32_e32 v26, s8
	v_mov_b32_e32 v27, s8
	;; [unrolled: 1-line block ×8, first 2 shown]
	s_mov_b32 s38, 0x3fb8aa3b
	s_mov_b32 s39, 0xc2ce8ed0
	;; [unrolled: 1-line block ×3, first 2 shown]
	v_mov_b32_e32 v34, 0x7f800000
	s_movk_i32 s41, 0x7fff
	v_mov_b32_e32 v35, 0x7fc0
	s_mov_b32 s42, 0x5040100
	v_mov_b64_e32 v[16:17], v[12:13]
	v_mov_b64_e32 v[6:7], v[4:5]
	;; [unrolled: 1-line block ×4, first 2 shown]
.LBB17_3:                               ; =>This Inner Loop Header: Depth=1
	v_lshl_add_u64 v[18:19], v[2:3], 2, s[24:25]
	v_lshl_add_u64 v[20:21], v[4:5], 2, s[24:25]
	;; [unrolled: 1-line block ×4, first 2 shown]
	global_load_dword v36, v[18:19], off
	global_load_dword v37, v[20:21], off
	;; [unrolled: 1-line block ×4, first 2 shown]
	v_lshl_add_u64 v[16:17], v[16:17], 0, -4
	v_cmp_eq_u64_e32 vcc, 0, v[16:17]
	s_or_b64 s[30:31], vcc, s[30:31]
	v_lshl_add_u64 v[8:9], v[8:9], 0, 4
	v_lshl_add_u64 v[6:7], v[6:7], 0, 4
	v_lshl_add_u64 v[4:5], v[4:5], 0, 4
	v_lshl_add_u64 v[2:3], v[2:3], 0, 4
	s_waitcnt vmcnt(3)
	v_and_b32_e32 v25, 0xffff0000, v36
	s_waitcnt vmcnt(2)
	v_and_b32_e32 v24, 0xffff0000, v37
	;; [unrolled: 2-line block ×4, first 2 shown]
	v_lshlrev_b32_e32 v18, 16, v36
	v_cmp_gt_f32_e32 vcc, s8, v25
	v_cmp_gt_f32_e64 s[0:1], s11, v24
	v_cmp_gt_f32_e64 s[2:3], s17, v23
	;; [unrolled: 1-line block ×3, first 2 shown]
	v_lshlrev_b32_e32 v19, 16, v37
	v_cndmask_b32_e32 v36, v25, v26, vcc
	v_cmp_lt_f32_e32 vcc, s34, v25
	v_cndmask_b32_e64 v25, v24, v27, s[0:1]
	v_cmp_lt_f32_e64 s[0:1], s35, v24
	v_cndmask_b32_e64 v24, v23, v28, s[2:3]
	v_cmp_lt_f32_e64 s[2:3], s36, v23
	;; [unrolled: 2-line block ×3, first 2 shown]
	v_lshlrev_b32_e32 v20, 16, v38
	v_lshlrev_b32_e32 v21, 16, v39
	v_cndmask_b32_e64 v18, v18, v33, s[4:5]
	v_cmp_lt_f32_e64 s[4:5], s35, v19
	v_xor_b32_e32 v38, 0x80000000, v18
	v_cndmask_b32_e64 v25, v25, v32, s[0:1]
	v_cndmask_b32_e64 v19, v19, v32, s[4:5]
	v_cmp_lt_f32_e64 s[4:5], s36, v20
	v_xor_b32_e32 v39, 0x80000000, v19
	v_pk_mul_f32 v[38:39], s[26:27], v[38:39]
	v_cndmask_b32_e64 v20, v20, v31, s[4:5]
	v_cmp_lt_f32_e64 s[4:5], s37, v21
	v_mul_f32_e32 v42, 0x3fb8aa3b, v39
	v_mul_f32_e32 v43, 0x3fb8aa3b, v38
	v_cndmask_b32_e64 v21, v21, v30, s[4:5]
	v_cmp_lt_f32_e64 s[4:5], s37, v22
	v_cndmask_b32_e64 v22, v24, v31, s[2:3]
	v_cndmask_b32_e32 v24, v36, v33, vcc
	v_xor_b32_e32 v37, 0x80000000, v21
	v_xor_b32_e32 v36, 0x80000000, v20
	v_pk_mul_f32 v[36:37], s[28:29], v[36:37]
	v_fma_f32 v48, v39, s38, -v42
	v_mul_f32_e32 v40, 0x3fb8aa3b, v37
	v_mul_f32_e32 v41, 0x3fb8aa3b, v36
	v_fma_f32 v44, v37, s38, -v40
	v_rndne_f32_e32 v45, v40
	v_fma_f32 v46, v36, s38, -v41
	v_rndne_f32_e32 v47, v41
	v_fmac_f32_e32 v44, 0x32a5705f, v37
	v_sub_f32_e32 v40, v40, v45
	v_fmac_f32_e32 v46, 0x32a5705f, v36
	v_sub_f32_e32 v41, v41, v47
	v_rndne_f32_e32 v49, v42
	v_fma_f32 v50, v38, s38, -v43
	v_rndne_f32_e32 v51, v43
	v_add_f32_e32 v40, v40, v44
	v_add_f32_e32 v41, v41, v46
	v_cvt_i32_f32_e32 v45, v45
	v_cvt_i32_f32_e32 v47, v47
	v_fmac_f32_e32 v48, 0x32a5705f, v39
	v_sub_f32_e32 v42, v42, v49
	v_fmac_f32_e32 v50, 0x32a5705f, v38
	v_sub_f32_e32 v43, v43, v51
	v_exp_f32_e32 v40, v40
	v_exp_f32_e32 v41, v41
	v_add_f32_e32 v42, v42, v48
	v_add_f32_e32 v43, v43, v50
	v_cvt_i32_f32_e32 v49, v49
	v_cvt_i32_f32_e32 v51, v51
	v_exp_f32_e32 v42, v42
	v_exp_f32_e32 v43, v43
	v_cndmask_b32_e64 v23, v23, v30, s[4:5]
	v_ldexp_f32 v40, v40, v45
	v_ldexp_f32 v41, v41, v47
	v_cmp_ngt_f32_e32 vcc, s39, v36
	v_cmp_ngt_f32_e64 s[4:5], s39, v37
	v_ldexp_f32 v42, v42, v49
	v_cndmask_b32_e32 v41, 0, v41, vcc
	v_cndmask_b32_e64 v40, 0, v40, s[4:5]
	v_cmp_nlt_f32_e32 vcc, s40, v36
	v_cmp_nlt_f32_e64 s[4:5], s40, v37
	v_cmp_ngt_f32_e64 s[0:1], s39, v39
	v_ldexp_f32 v43, v43, v51
	v_cmp_ngt_f32_e64 s[2:3], s39, v38
	v_cndmask_b32_e64 v37, v34, v40, s[4:5]
	v_cndmask_b32_e32 v36, v34, v41, vcc
	v_cndmask_b32_e64 v42, 0, v42, s[0:1]
	v_cmp_nlt_f32_e64 s[0:1], s40, v39
	v_cndmask_b32_e64 v43, 0, v43, s[2:3]
	v_cmp_nlt_f32_e64 s[2:3], s40, v38
	v_pk_add_f32 v[36:37], v[36:37], 1.0 op_sel_hi:[1,0]
	v_cndmask_b32_e64 v39, v34, v42, s[0:1]
	v_cndmask_b32_e64 v38, v34, v43, s[2:3]
	v_div_scale_f32 v40, s[0:1], v37, v37, 1.0
	v_pk_add_f32 v[38:39], v[38:39], 1.0 op_sel_hi:[1,0]
	v_div_scale_f32 v42, s[0:1], v36, v36, 1.0
	v_rcp_f32_e32 v48, v40
	v_div_scale_f32 v44, s[2:3], v39, v39, 1.0
	v_rcp_f32_e32 v49, v42
	;; [unrolled: 2-line block ×3, first 2 shown]
	v_rcp_f32_e32 v51, v46
	v_fma_f32 v52, -v40, v48, 1.0
	v_div_scale_f32 v41, vcc, 1.0, v37, 1.0
	v_fma_f32 v53, -v42, v49, 1.0
	v_fmac_f32_e32 v48, v52, v48
	v_div_scale_f32 v43, s[0:1], 1.0, v36, 1.0
	v_fma_f32 v54, -v44, v50, 1.0
	v_fmac_f32_e32 v49, v53, v49
	v_mul_f32_e32 v52, v41, v48
	v_div_scale_f32 v45, s[2:3], 1.0, v39, 1.0
	v_fma_f32 v55, -v46, v51, 1.0
	v_fmac_f32_e32 v50, v54, v50
	v_mul_f32_e32 v53, v43, v49
	v_fma_f32 v56, -v40, v52, v41
	v_div_scale_f32 v47, s[4:5], 1.0, v38, 1.0
	v_fmac_f32_e32 v51, v55, v51
	v_mul_f32_e32 v54, v45, v50
	v_fma_f32 v57, -v42, v53, v43
	v_fmac_f32_e32 v52, v56, v48
	v_mul_f32_e32 v55, v47, v51
	v_fma_f32 v58, -v44, v54, v45
	v_fmac_f32_e32 v53, v57, v49
	v_fma_f32 v40, -v40, v52, v41
	v_fma_f32 v59, -v46, v55, v47
	v_fmac_f32_e32 v54, v58, v50
	v_fma_f32 v41, -v42, v53, v43
	v_div_fmas_f32 v40, v40, v48, v52
	s_mov_b64 vcc, s[0:1]
	v_fmac_f32_e32 v55, v59, v51
	v_fma_f32 v42, -v44, v54, v45
	v_div_fixup_f32 v37, v40, v37, 1.0
	v_div_fmas_f32 v40, v41, v49, v53
	s_mov_b64 vcc, s[2:3]
	v_fma_f32 v43, -v46, v55, v47
	v_div_fixup_f32 v36, v40, v36, 1.0
	v_div_fmas_f32 v40, v42, v50, v54
	s_mov_b64 vcc, s[4:5]
	v_div_fixup_f32 v39, v40, v39, 1.0
	v_div_fmas_f32 v40, v43, v51, v55
	v_pk_add_f32 v[22:23], v[22:23], 1.0 op_sel_hi:[1,0]
	v_pk_mul_f32 v[20:21], v[20:21], v[36:37]
	v_div_fixup_f32 v38, v40, v38, 1.0
	v_pk_add_f32 v[24:25], v[24:25], 1.0 op_sel_hi:[1,0]
	v_pk_mul_f32 v[20:21], v[22:23], v[20:21]
	v_pk_mul_f32 v[18:19], v[18:19], v[38:39]
	v_bfe_u32 v22, v20, 16, 1
	v_bfe_u32 v23, v21, 16, 1
	v_pk_mul_f32 v[18:19], v[24:25], v[18:19]
	v_add3_u32 v23, v21, v23, s41
	v_add3_u32 v22, v20, v22, s41
	v_bfe_u32 v24, v18, 16, 1
	v_bfe_u32 v25, v19, 16, 1
	v_lshrrev_b32_e32 v22, 16, v22
	v_lshrrev_b32_e32 v23, 16, v23
	v_cmp_o_f32_e32 vcc, v20, v20
	v_cmp_o_f32_e64 s[0:1], v21, v21
	v_add3_u32 v20, v19, v25, s41
	v_add3_u32 v21, v18, v24, s41
	v_cndmask_b32_e32 v22, v35, v22, vcc
	v_cndmask_b32_e64 v23, v35, v23, s[0:1]
	v_lshrrev_b32_e32 v24, 16, v21
	v_lshrrev_b32_e32 v20, 16, v20
	v_cmp_o_f32_e32 vcc, v19, v19
	v_cmp_o_f32_e64 s[0:1], v18, v18
	v_perm_b32 v21, v23, v22, s42
	v_cndmask_b32_e32 v19, v35, v20, vcc
	v_cndmask_b32_e64 v18, v35, v24, s[0:1]
	v_perm_b32 v20, v19, v18, s42
	global_store_dwordx2 v[14:15], v[20:21], off
	v_lshl_add_u64 v[14:15], v[14:15], 0, 8
	s_andn2_b64 exec, exec, s[30:31]
	s_cbranch_execnz .LBB17_3
; %bb.4:
	s_or_b64 exec, exec, s[30:31]
	v_cmp_ne_u64_e32 vcc, v[10:11], v[12:13]
	v_lshl_add_u64 v[0:1], v[12:13], 0, v[0:1]
	s_orn2_b64 s[0:1], vcc, exec
.LBB17_5:
	s_or_b64 exec, exec, s[22:23]
	s_and_b64 exec, exec, s[0:1]
	s_cbranch_execz .LBB17_8
; %bb.6:
	s_lshl_b64 s[0:1], s[20:21], 1
	s_add_u32 s0, s12, s0
	s_addc_u32 s1, s13, s1
	v_lshl_add_u64 v[2:3], v[0:1], 1, s[0:1]
	s_lshl_b32 s0, s16, 1
	s_add_u32 s2, s14, s18
	s_mov_b32 s17, 0
	s_addc_u32 s3, s15, s19
	s_mov_b32 s8, s10
	s_mov_b32 s1, s17
	v_lshl_add_u64 v[4:5], v[0:1], 2, s[2:3]
	s_lshl_b32 s2, s16, 2
	s_mov_b32 s3, s17
	s_mov_b64 s[4:5], 0
	v_mov_b32_e32 v6, s10
	s_mov_b32 s11, 0x3fb8aa3b
	s_mov_b32 s12, 0xc2ce8ed0
	;; [unrolled: 1-line block ×3, first 2 shown]
	v_mov_b32_e32 v7, 0x7f800000
	s_movk_i32 s14, 0x7fff
	v_mov_b32_e32 v8, 0x7fc0
.LBB17_7:                               ; =>This Inner Loop Header: Depth=1
	global_load_dword v9, v[4:5], off
	v_lshl_add_u64 v[0:1], v[0:1], 0, s[16:17]
	v_cmp_le_i64_e32 vcc, s[6:7], v[0:1]
	s_or_b64 s[4:5], vcc, s[4:5]
	v_lshl_add_u64 v[4:5], v[4:5], 0, s[2:3]
	s_waitcnt vmcnt(0)
	v_and_b32_e32 v10, 0xffff0000, v9
	v_lshlrev_b32_e32 v9, 16, v9
	v_cmp_lt_f32_e64 s[18:19], v10, -s10
	v_cmp_lt_f32_e32 vcc, s10, v9
	s_nop 0
	v_cndmask_b32_e64 v11, v10, -v6, s[18:19]
	v_cndmask_b32_e32 v9, v9, v6, vcc
	v_cmp_lt_f32_e32 vcc, s8, v10
	s_nop 1
	v_cndmask_b32_e32 v10, v11, v6, vcc
	v_mul_f32_e64 v11, s9, -v9
	v_mul_f32_e32 v12, 0x3fb8aa3b, v11
	v_fma_f32 v13, v11, s11, -v12
	v_rndne_f32_e32 v14, v12
	v_fmac_f32_e32 v13, 0x32a5705f, v11
	v_sub_f32_e32 v12, v12, v14
	v_add_f32_e32 v12, v12, v13
	v_cvt_i32_f32_e32 v14, v14
	v_exp_f32_e32 v12, v12
	v_cmp_ngt_f32_e32 vcc, s12, v11
	v_add_f32_e32 v10, 1.0, v10
	v_ldexp_f32 v12, v12, v14
	v_cndmask_b32_e32 v12, 0, v12, vcc
	v_cmp_nlt_f32_e32 vcc, s13, v11
	s_nop 1
	v_cndmask_b32_e32 v11, v7, v12, vcc
	v_add_f32_e32 v11, 1.0, v11
	v_div_scale_f32 v12, s[18:19], v11, v11, 1.0
	v_rcp_f32_e32 v14, v12
	v_div_scale_f32 v13, vcc, 1.0, v11, 1.0
	v_fma_f32 v15, -v12, v14, 1.0
	v_fmac_f32_e32 v14, v15, v14
	v_mul_f32_e32 v15, v13, v14
	v_fma_f32 v16, -v12, v15, v13
	v_fmac_f32_e32 v15, v16, v14
	v_fma_f32 v12, -v12, v15, v13
	v_div_fmas_f32 v12, v12, v14, v15
	v_div_fixup_f32 v11, v12, v11, 1.0
	v_mul_f32_e32 v9, v9, v11
	v_mul_f32_e32 v9, v10, v9
	v_bfe_u32 v10, v9, 16, 1
	v_cmp_o_f32_e32 vcc, v9, v9
	v_add3_u32 v9, v9, v10, s14
	s_nop 0
	v_cndmask_b32_sdwa v9, v8, v9, vcc dst_sel:DWORD dst_unused:UNUSED_PAD src0_sel:DWORD src1_sel:WORD_1
	global_store_short v[2:3], v9, off
	v_lshl_add_u64 v[2:3], v[2:3], 0, s[0:1]
	s_andn2_b64 exec, exec, s[4:5]
	s_cbranch_execnz .LBB17_7
.LBB17_8:
	s_endpgm
	.section	.rodata,"a",@progbits
	.p2align	6, 0x0
	.amdhsa_kernel _ZN4vllm24swigluoai_and_mul_kernelIN3c108BFloat16ETnPFT_RKS3_S5_ffEXadL_ZNS_17swigluoai_and_mulIS2_EES3_S5_S5_ffEEEEvPS3_PS4_iff
		.amdhsa_group_segment_fixed_size 0
		.amdhsa_private_segment_fixed_size 0
		.amdhsa_kernarg_size 288
		.amdhsa_user_sgpr_count 2
		.amdhsa_user_sgpr_dispatch_ptr 0
		.amdhsa_user_sgpr_queue_ptr 0
		.amdhsa_user_sgpr_kernarg_segment_ptr 1
		.amdhsa_user_sgpr_dispatch_id 0
		.amdhsa_user_sgpr_kernarg_preload_length 0
		.amdhsa_user_sgpr_kernarg_preload_offset 0
		.amdhsa_user_sgpr_private_segment_size 0
		.amdhsa_uses_dynamic_stack 0
		.amdhsa_enable_private_segment 0
		.amdhsa_system_sgpr_workgroup_id_x 1
		.amdhsa_system_sgpr_workgroup_id_y 0
		.amdhsa_system_sgpr_workgroup_id_z 0
		.amdhsa_system_sgpr_workgroup_info 0
		.amdhsa_system_vgpr_workitem_id 0
		.amdhsa_next_free_vgpr 60
		.amdhsa_next_free_sgpr 43
		.amdhsa_accum_offset 60
		.amdhsa_reserve_vcc 1
		.amdhsa_float_round_mode_32 0
		.amdhsa_float_round_mode_16_64 0
		.amdhsa_float_denorm_mode_32 3
		.amdhsa_float_denorm_mode_16_64 3
		.amdhsa_dx10_clamp 1
		.amdhsa_ieee_mode 1
		.amdhsa_fp16_overflow 0
		.amdhsa_tg_split 0
		.amdhsa_exception_fp_ieee_invalid_op 0
		.amdhsa_exception_fp_denorm_src 0
		.amdhsa_exception_fp_ieee_div_zero 0
		.amdhsa_exception_fp_ieee_overflow 0
		.amdhsa_exception_fp_ieee_underflow 0
		.amdhsa_exception_fp_ieee_inexact 0
		.amdhsa_exception_int_div_zero 0
	.end_amdhsa_kernel
	.section	.text._ZN4vllm24swigluoai_and_mul_kernelIN3c108BFloat16ETnPFT_RKS3_S5_ffEXadL_ZNS_17swigluoai_and_mulIS2_EES3_S5_S5_ffEEEEvPS3_PS4_iff,"axG",@progbits,_ZN4vllm24swigluoai_and_mul_kernelIN3c108BFloat16ETnPFT_RKS3_S5_ffEXadL_ZNS_17swigluoai_and_mulIS2_EES3_S5_S5_ffEEEEvPS3_PS4_iff,comdat
.Lfunc_end17:
	.size	_ZN4vllm24swigluoai_and_mul_kernelIN3c108BFloat16ETnPFT_RKS3_S5_ffEXadL_ZNS_17swigluoai_and_mulIS2_EES3_S5_S5_ffEEEEvPS3_PS4_iff, .Lfunc_end17-_ZN4vllm24swigluoai_and_mul_kernelIN3c108BFloat16ETnPFT_RKS3_S5_ffEXadL_ZNS_17swigluoai_and_mulIS2_EES3_S5_S5_ffEEEEvPS3_PS4_iff
                                        ; -- End function
	.set _ZN4vllm24swigluoai_and_mul_kernelIN3c108BFloat16ETnPFT_RKS3_S5_ffEXadL_ZNS_17swigluoai_and_mulIS2_EES3_S5_S5_ffEEEEvPS3_PS4_iff.num_vgpr, 60
	.set _ZN4vllm24swigluoai_and_mul_kernelIN3c108BFloat16ETnPFT_RKS3_S5_ffEXadL_ZNS_17swigluoai_and_mulIS2_EES3_S5_S5_ffEEEEvPS3_PS4_iff.num_agpr, 0
	.set _ZN4vllm24swigluoai_and_mul_kernelIN3c108BFloat16ETnPFT_RKS3_S5_ffEXadL_ZNS_17swigluoai_and_mulIS2_EES3_S5_S5_ffEEEEvPS3_PS4_iff.numbered_sgpr, 43
	.set _ZN4vllm24swigluoai_and_mul_kernelIN3c108BFloat16ETnPFT_RKS3_S5_ffEXadL_ZNS_17swigluoai_and_mulIS2_EES3_S5_S5_ffEEEEvPS3_PS4_iff.num_named_barrier, 0
	.set _ZN4vllm24swigluoai_and_mul_kernelIN3c108BFloat16ETnPFT_RKS3_S5_ffEXadL_ZNS_17swigluoai_and_mulIS2_EES3_S5_S5_ffEEEEvPS3_PS4_iff.private_seg_size, 0
	.set _ZN4vllm24swigluoai_and_mul_kernelIN3c108BFloat16ETnPFT_RKS3_S5_ffEXadL_ZNS_17swigluoai_and_mulIS2_EES3_S5_S5_ffEEEEvPS3_PS4_iff.uses_vcc, 1
	.set _ZN4vllm24swigluoai_and_mul_kernelIN3c108BFloat16ETnPFT_RKS3_S5_ffEXadL_ZNS_17swigluoai_and_mulIS2_EES3_S5_S5_ffEEEEvPS3_PS4_iff.uses_flat_scratch, 0
	.set _ZN4vllm24swigluoai_and_mul_kernelIN3c108BFloat16ETnPFT_RKS3_S5_ffEXadL_ZNS_17swigluoai_and_mulIS2_EES3_S5_S5_ffEEEEvPS3_PS4_iff.has_dyn_sized_stack, 0
	.set _ZN4vllm24swigluoai_and_mul_kernelIN3c108BFloat16ETnPFT_RKS3_S5_ffEXadL_ZNS_17swigluoai_and_mulIS2_EES3_S5_S5_ffEEEEvPS3_PS4_iff.has_recursion, 0
	.set _ZN4vllm24swigluoai_and_mul_kernelIN3c108BFloat16ETnPFT_RKS3_S5_ffEXadL_ZNS_17swigluoai_and_mulIS2_EES3_S5_S5_ffEEEEvPS3_PS4_iff.has_indirect_call, 0
	.section	.AMDGPU.csdata,"",@progbits
; Kernel info:
; codeLenInByte = 2088
; TotalNumSgprs: 49
; NumVgprs: 60
; NumAgprs: 0
; TotalNumVgprs: 60
; ScratchSize: 0
; MemoryBound: 0
; FloatMode: 240
; IeeeMode: 1
; LDSByteSize: 0 bytes/workgroup (compile time only)
; SGPRBlocks: 6
; VGPRBlocks: 7
; NumSGPRsForWavesPerEU: 49
; NumVGPRsForWavesPerEU: 60
; AccumOffset: 60
; Occupancy: 8
; WaveLimiterHint : 0
; COMPUTE_PGM_RSRC2:SCRATCH_EN: 0
; COMPUTE_PGM_RSRC2:USER_SGPR: 2
; COMPUTE_PGM_RSRC2:TRAP_HANDLER: 0
; COMPUTE_PGM_RSRC2:TGID_X_EN: 1
; COMPUTE_PGM_RSRC2:TGID_Y_EN: 0
; COMPUTE_PGM_RSRC2:TGID_Z_EN: 0
; COMPUTE_PGM_RSRC2:TIDIG_COMP_CNT: 0
; COMPUTE_PGM_RSRC3_GFX90A:ACCUM_OFFSET: 14
; COMPUTE_PGM_RSRC3_GFX90A:TG_SPLIT: 0
	.section	.text._ZN4vllm17activation_kernelIfTnPFT_RKS1_EXadL_ZNS_15gelu_new_kernelIfEES1_S3_EEEEvPS1_PS2_i,"axG",@progbits,_ZN4vllm17activation_kernelIfTnPFT_RKS1_EXadL_ZNS_15gelu_new_kernelIfEES1_S3_EEEEvPS1_PS2_i,comdat
	.protected	_ZN4vllm17activation_kernelIfTnPFT_RKS1_EXadL_ZNS_15gelu_new_kernelIfEES1_S3_EEEEvPS1_PS2_i ; -- Begin function _ZN4vllm17activation_kernelIfTnPFT_RKS1_EXadL_ZNS_15gelu_new_kernelIfEES1_S3_EEEEvPS1_PS2_i
	.globl	_ZN4vllm17activation_kernelIfTnPFT_RKS1_EXadL_ZNS_15gelu_new_kernelIfEES1_S3_EEEEvPS1_PS2_i
	.p2align	8
	.type	_ZN4vllm17activation_kernelIfTnPFT_RKS1_EXadL_ZNS_15gelu_new_kernelIfEES1_S3_EEEEvPS1_PS2_i,@function
_ZN4vllm17activation_kernelIfTnPFT_RKS1_EXadL_ZNS_15gelu_new_kernelIfEES1_S3_EEEEvPS1_PS2_i: ; @_ZN4vllm17activation_kernelIfTnPFT_RKS1_EXadL_ZNS_15gelu_new_kernelIfEES1_S3_EEEEvPS1_PS2_i
; %bb.0:
	s_load_dword s8, s[0:1], 0x10
	s_waitcnt lgkmcnt(0)
	v_cmp_gt_i32_e32 vcc, s8, v0
	s_and_saveexec_b64 s[4:5], vcc
	s_cbranch_execz .LBB18_7
; %bb.1:
	s_load_dword s3, s[0:1], 0x24
	s_load_dwordx4 s[4:7], s[0:1], 0x0
	s_ashr_i32 s9, s8, 31
	v_mov_b32_e32 v1, 0
	v_mov_b32_e32 v2, s2
	s_waitcnt lgkmcnt(0)
	s_and_b32 s0, s3, 0xffff
	s_mul_i32 s10, s9, s2
	v_mad_u64_u32 v[2:3], s[2:3], s8, v2, v[0:1]
	s_mov_b32 s1, 0
	v_add_u32_e32 v3, s10, v3
                                        ; implicit-def: $vgpr5
                                        ; implicit-def: $vgpr5
	;; [unrolled: 1-line block ×3, first 2 shown]
	v_lshlrev_b64 v[2:3], 2, v[2:3]
	s_lshl_b32 s2, s0, 2
	s_mov_b32 s3, s1
	s_mov_b64 s[10:11], 0
	s_mov_b32 s14, 0x3f200000
	s_mov_b32 s15, 0x3fb8aa3b
	s_mov_b32 s16, 0xc2ce8ed0
	s_mov_b32 s17, 0x42b17218
	v_mov_b32_e32 v4, 0x3ca908c9
	s_brev_b32 s18, -2
	v_mov_b32_e32 v5, 0x7f800000
	s_branch .LBB18_3
.LBB18_2:                               ;   in Loop: Header=BB18_3 Depth=1
	s_or_b64 exec, exec, s[12:13]
	v_bfi_b32 v7, s18, v8, v7
	v_lshl_add_u64 v[0:1], v[0:1], 0, s[0:1]
	v_mul_f32_e32 v6, 0.5, v6
	v_add_f32_e32 v7, 1.0, v7
	v_cmp_le_i64_e32 vcc, s[8:9], v[0:1]
	v_mul_f32_e32 v8, v6, v7
	v_lshl_add_u64 v[6:7], s[4:5], 0, v[2:3]
	s_or_b64 s[10:11], vcc, s[10:11]
	v_lshl_add_u64 v[2:3], v[2:3], 0, s[2:3]
	global_store_dword v[6:7], v8, off
	s_andn2_b64 exec, exec, s[10:11]
	s_cbranch_execz .LBB18_7
.LBB18_3:                               ; =>This Inner Loop Header: Depth=1
	v_lshl_add_u64 v[6:7], s[6:7], 0, v[2:3]
	global_load_dword v6, v[6:7], off
                                        ; implicit-def: $vgpr8
	s_waitcnt vmcnt(0)
	v_mul_f32_e32 v7, v6, v6
	v_mul_f32_e32 v7, v6, v7
	v_fmamk_f32 v7, v7, 0x3d372713, v6
	v_mul_f32_e32 v7, 0x3f4c422a, v7
	v_cmp_nlt_f32_e64 s[12:13], |v7|, s14
	s_and_saveexec_b64 s[20:21], s[12:13]
	s_xor_b64 s[12:13], exec, s[20:21]
	s_cbranch_execz .LBB18_5
; %bb.4:                                ;   in Loop: Header=BB18_3 Depth=1
	v_add_f32_e64 v8, |v7|, |v7|
	v_mul_f32_e32 v9, 0x3fb8aa3b, v8
	v_rndne_f32_e32 v10, v9
	v_sub_f32_e32 v11, v9, v10
	v_fma_f32 v9, v8, s15, -v9
	v_fmac_f32_e32 v9, 0x32a5705f, v8
	v_add_f32_e32 v9, v11, v9
	v_cvt_i32_f32_e32 v10, v10
	v_exp_f32_e32 v9, v9
	v_cmp_ngt_f32_e32 vcc, s16, v8
	v_ldexp_f32 v9, v9, v10
	s_nop 0
	v_cndmask_b32_e32 v9, 0, v9, vcc
	v_cmp_nlt_f32_e32 vcc, s17, v8
	s_nop 1
	v_cndmask_b32_e32 v8, v5, v9, vcc
	v_add_f32_e32 v8, 1.0, v8
	v_rcp_f32_e32 v8, v8
	s_nop 0
	v_fma_f32 v8, v8, -2.0, 1.0
.LBB18_5:                               ;   in Loop: Header=BB18_3 Depth=1
	s_andn2_saveexec_b64 s[12:13], s[12:13]
	s_cbranch_execz .LBB18_2
; %bb.6:                                ;   in Loop: Header=BB18_3 Depth=1
	v_mul_f32_e32 v8, v7, v7
	v_fmamk_f32 v9, v8, 0xbbbac73d, v4
	v_fmaak_f32 v9, v8, v9, 0xbd5c1c4e
	v_fmaak_f32 v9, v8, v9, 0x3e088382
	;; [unrolled: 1-line block ×3, first 2 shown]
	v_mul_f32_e64 v9, |v7|, v9
	v_fma_f32 v8, v8, v9, |v7|
	s_branch .LBB18_2
.LBB18_7:
	s_endpgm
	.section	.rodata,"a",@progbits
	.p2align	6, 0x0
	.amdhsa_kernel _ZN4vllm17activation_kernelIfTnPFT_RKS1_EXadL_ZNS_15gelu_new_kernelIfEES1_S3_EEEEvPS1_PS2_i
		.amdhsa_group_segment_fixed_size 0
		.amdhsa_private_segment_fixed_size 0
		.amdhsa_kernarg_size 280
		.amdhsa_user_sgpr_count 2
		.amdhsa_user_sgpr_dispatch_ptr 0
		.amdhsa_user_sgpr_queue_ptr 0
		.amdhsa_user_sgpr_kernarg_segment_ptr 1
		.amdhsa_user_sgpr_dispatch_id 0
		.amdhsa_user_sgpr_kernarg_preload_length 0
		.amdhsa_user_sgpr_kernarg_preload_offset 0
		.amdhsa_user_sgpr_private_segment_size 0
		.amdhsa_uses_dynamic_stack 0
		.amdhsa_enable_private_segment 0
		.amdhsa_system_sgpr_workgroup_id_x 1
		.amdhsa_system_sgpr_workgroup_id_y 0
		.amdhsa_system_sgpr_workgroup_id_z 0
		.amdhsa_system_sgpr_workgroup_info 0
		.amdhsa_system_vgpr_workitem_id 0
		.amdhsa_next_free_vgpr 12
		.amdhsa_next_free_sgpr 22
		.amdhsa_accum_offset 12
		.amdhsa_reserve_vcc 1
		.amdhsa_float_round_mode_32 0
		.amdhsa_float_round_mode_16_64 0
		.amdhsa_float_denorm_mode_32 3
		.amdhsa_float_denorm_mode_16_64 3
		.amdhsa_dx10_clamp 1
		.amdhsa_ieee_mode 1
		.amdhsa_fp16_overflow 0
		.amdhsa_tg_split 0
		.amdhsa_exception_fp_ieee_invalid_op 0
		.amdhsa_exception_fp_denorm_src 0
		.amdhsa_exception_fp_ieee_div_zero 0
		.amdhsa_exception_fp_ieee_overflow 0
		.amdhsa_exception_fp_ieee_underflow 0
		.amdhsa_exception_fp_ieee_inexact 0
		.amdhsa_exception_int_div_zero 0
	.end_amdhsa_kernel
	.section	.text._ZN4vllm17activation_kernelIfTnPFT_RKS1_EXadL_ZNS_15gelu_new_kernelIfEES1_S3_EEEEvPS1_PS2_i,"axG",@progbits,_ZN4vllm17activation_kernelIfTnPFT_RKS1_EXadL_ZNS_15gelu_new_kernelIfEES1_S3_EEEEvPS1_PS2_i,comdat
.Lfunc_end18:
	.size	_ZN4vllm17activation_kernelIfTnPFT_RKS1_EXadL_ZNS_15gelu_new_kernelIfEES1_S3_EEEEvPS1_PS2_i, .Lfunc_end18-_ZN4vllm17activation_kernelIfTnPFT_RKS1_EXadL_ZNS_15gelu_new_kernelIfEES1_S3_EEEEvPS1_PS2_i
                                        ; -- End function
	.set _ZN4vllm17activation_kernelIfTnPFT_RKS1_EXadL_ZNS_15gelu_new_kernelIfEES1_S3_EEEEvPS1_PS2_i.num_vgpr, 12
	.set _ZN4vllm17activation_kernelIfTnPFT_RKS1_EXadL_ZNS_15gelu_new_kernelIfEES1_S3_EEEEvPS1_PS2_i.num_agpr, 0
	.set _ZN4vllm17activation_kernelIfTnPFT_RKS1_EXadL_ZNS_15gelu_new_kernelIfEES1_S3_EEEEvPS1_PS2_i.numbered_sgpr, 22
	.set _ZN4vllm17activation_kernelIfTnPFT_RKS1_EXadL_ZNS_15gelu_new_kernelIfEES1_S3_EEEEvPS1_PS2_i.num_named_barrier, 0
	.set _ZN4vllm17activation_kernelIfTnPFT_RKS1_EXadL_ZNS_15gelu_new_kernelIfEES1_S3_EEEEvPS1_PS2_i.private_seg_size, 0
	.set _ZN4vllm17activation_kernelIfTnPFT_RKS1_EXadL_ZNS_15gelu_new_kernelIfEES1_S3_EEEEvPS1_PS2_i.uses_vcc, 1
	.set _ZN4vllm17activation_kernelIfTnPFT_RKS1_EXadL_ZNS_15gelu_new_kernelIfEES1_S3_EEEEvPS1_PS2_i.uses_flat_scratch, 0
	.set _ZN4vllm17activation_kernelIfTnPFT_RKS1_EXadL_ZNS_15gelu_new_kernelIfEES1_S3_EEEEvPS1_PS2_i.has_dyn_sized_stack, 0
	.set _ZN4vllm17activation_kernelIfTnPFT_RKS1_EXadL_ZNS_15gelu_new_kernelIfEES1_S3_EEEEvPS1_PS2_i.has_recursion, 0
	.set _ZN4vllm17activation_kernelIfTnPFT_RKS1_EXadL_ZNS_15gelu_new_kernelIfEES1_S3_EEEEvPS1_PS2_i.has_indirect_call, 0
	.section	.AMDGPU.csdata,"",@progbits
; Kernel info:
; codeLenInByte = 468
; TotalNumSgprs: 28
; NumVgprs: 12
; NumAgprs: 0
; TotalNumVgprs: 12
; ScratchSize: 0
; MemoryBound: 0
; FloatMode: 240
; IeeeMode: 1
; LDSByteSize: 0 bytes/workgroup (compile time only)
; SGPRBlocks: 3
; VGPRBlocks: 1
; NumSGPRsForWavesPerEU: 28
; NumVGPRsForWavesPerEU: 12
; AccumOffset: 12
; Occupancy: 8
; WaveLimiterHint : 0
; COMPUTE_PGM_RSRC2:SCRATCH_EN: 0
; COMPUTE_PGM_RSRC2:USER_SGPR: 2
; COMPUTE_PGM_RSRC2:TRAP_HANDLER: 0
; COMPUTE_PGM_RSRC2:TGID_X_EN: 1
; COMPUTE_PGM_RSRC2:TGID_Y_EN: 0
; COMPUTE_PGM_RSRC2:TGID_Z_EN: 0
; COMPUTE_PGM_RSRC2:TIDIG_COMP_CNT: 0
; COMPUTE_PGM_RSRC3_GFX90A:ACCUM_OFFSET: 2
; COMPUTE_PGM_RSRC3_GFX90A:TG_SPLIT: 0
	.section	.text._ZN4vllm17activation_kernelIN3c104HalfETnPFT_RKS3_EXadL_ZNS_15gelu_new_kernelIS2_EES3_S5_EEEEvPS3_PS4_i,"axG",@progbits,_ZN4vllm17activation_kernelIN3c104HalfETnPFT_RKS3_EXadL_ZNS_15gelu_new_kernelIS2_EES3_S5_EEEEvPS3_PS4_i,comdat
	.protected	_ZN4vllm17activation_kernelIN3c104HalfETnPFT_RKS3_EXadL_ZNS_15gelu_new_kernelIS2_EES3_S5_EEEEvPS3_PS4_i ; -- Begin function _ZN4vllm17activation_kernelIN3c104HalfETnPFT_RKS3_EXadL_ZNS_15gelu_new_kernelIS2_EES3_S5_EEEEvPS3_PS4_i
	.globl	_ZN4vllm17activation_kernelIN3c104HalfETnPFT_RKS3_EXadL_ZNS_15gelu_new_kernelIS2_EES3_S5_EEEEvPS3_PS4_i
	.p2align	8
	.type	_ZN4vllm17activation_kernelIN3c104HalfETnPFT_RKS3_EXadL_ZNS_15gelu_new_kernelIS2_EES3_S5_EEEEvPS3_PS4_i,@function
_ZN4vllm17activation_kernelIN3c104HalfETnPFT_RKS3_EXadL_ZNS_15gelu_new_kernelIS2_EES3_S5_EEEEvPS3_PS4_i: ; @_ZN4vllm17activation_kernelIN3c104HalfETnPFT_RKS3_EXadL_ZNS_15gelu_new_kernelIS2_EES3_S5_EEEEvPS3_PS4_i
; %bb.0:
	s_load_dword s8, s[0:1], 0x10
	s_waitcnt lgkmcnt(0)
	v_cmp_gt_i32_e32 vcc, s8, v0
	s_and_saveexec_b64 s[4:5], vcc
	s_cbranch_execz .LBB19_7
; %bb.1:
	s_load_dword s3, s[0:1], 0x24
	s_load_dwordx4 s[4:7], s[0:1], 0x0
	s_ashr_i32 s9, s8, 31
	v_mov_b32_e32 v1, 0
	v_mov_b32_e32 v2, s2
	s_waitcnt lgkmcnt(0)
	s_and_b32 s0, s3, 0xffff
	s_mul_i32 s10, s9, s2
	v_mad_u64_u32 v[2:3], s[2:3], s8, v2, v[0:1]
	s_mov_b32 s1, 0
	v_add_u32_e32 v3, s10, v3
                                        ; implicit-def: $vgpr5
                                        ; implicit-def: $vgpr5
	;; [unrolled: 1-line block ×3, first 2 shown]
	v_lshlrev_b64 v[2:3], 1, v[2:3]
	s_lshl_b32 s2, s0, 1
	s_mov_b32 s3, s1
	s_mov_b64 s[10:11], 0
	s_mov_b32 s14, 0x3d372713
	s_mov_b32 s15, 0x3f4c422a
	;; [unrolled: 1-line block ×6, first 2 shown]
	v_mov_b32_e32 v4, 0x3ca908c9
	s_movk_i32 s20, 0x7fff
	v_mov_b32_e32 v5, 0x7f800000
	s_branch .LBB19_3
.LBB19_2:                               ;   in Loop: Header=BB19_3 Depth=1
	s_or_b64 exec, exec, s[12:13]
	v_cvt_f16_f32_e32 v8, v8
	v_lshrrev_b32_e32 v9, 16, v7
	v_lshl_add_u64 v[0:1], v[0:1], 0, s[0:1]
	v_mul_f16_e32 v10, 0.5, v6
	v_bfi_b32 v8, s20, v8, v9
	v_add_f16_e32 v8, 1.0, v8
	v_cmp_le_i64_e32 vcc, s[8:9], v[0:1]
	v_lshl_add_u64 v[6:7], s[4:5], 0, v[2:3]
	v_mul_f16_e32 v8, v10, v8
	s_or_b64 s[10:11], vcc, s[10:11]
	v_lshl_add_u64 v[2:3], v[2:3], 0, s[2:3]
	global_store_short v[6:7], v8, off
	s_andn2_b64 exec, exec, s[10:11]
	s_cbranch_execz .LBB19_7
.LBB19_3:                               ; =>This Inner Loop Header: Depth=1
	v_lshl_add_u64 v[6:7], s[6:7], 0, v[2:3]
	global_load_ushort v6, v[6:7], off
                                        ; implicit-def: $vgpr8
	s_waitcnt vmcnt(0)
	v_mul_f16_e32 v7, v6, v6
	v_mul_f16_e32 v7, v6, v7
	v_fma_mixlo_f16 v7, v7, s14, 0 op_sel_hi:[1,0,0]
	s_nop 0
	v_add_f16_e32 v7, v6, v7
	v_fma_mixlo_f16 v7, v7, s15, 0 op_sel_hi:[1,0,0]
	s_nop 0
	v_cvt_f32_f16_e32 v7, v7
	v_cmp_nlt_f32_e64 s[12:13], |v7|, s16
	s_and_saveexec_b64 s[22:23], s[12:13]
	s_xor_b64 s[12:13], exec, s[22:23]
	s_cbranch_execz .LBB19_5
; %bb.4:                                ;   in Loop: Header=BB19_3 Depth=1
	v_add_f32_e64 v8, |v7|, |v7|
	v_mul_f32_e32 v9, 0x3fb8aa3b, v8
	v_rndne_f32_e32 v10, v9
	v_sub_f32_e32 v11, v9, v10
	v_fma_f32 v9, v8, s17, -v9
	v_fmac_f32_e32 v9, 0x32a5705f, v8
	v_add_f32_e32 v9, v11, v9
	v_cvt_i32_f32_e32 v10, v10
	v_exp_f32_e32 v9, v9
	v_cmp_ngt_f32_e32 vcc, s18, v8
	v_ldexp_f32 v9, v9, v10
	s_nop 0
	v_cndmask_b32_e32 v9, 0, v9, vcc
	v_cmp_nlt_f32_e32 vcc, s19, v8
	s_nop 1
	v_cndmask_b32_e32 v8, v5, v9, vcc
	v_add_f32_e32 v8, 1.0, v8
	v_rcp_f32_e32 v8, v8
	s_nop 0
	v_fma_f32 v8, v8, -2.0, 1.0
.LBB19_5:                               ;   in Loop: Header=BB19_3 Depth=1
	s_andn2_saveexec_b64 s[12:13], s[12:13]
	s_cbranch_execz .LBB19_2
; %bb.6:                                ;   in Loop: Header=BB19_3 Depth=1
	v_mul_f32_e32 v8, v7, v7
	v_fmamk_f32 v9, v8, 0xbbbac73d, v4
	v_fmaak_f32 v9, v8, v9, 0xbd5c1c4e
	v_fmaak_f32 v9, v8, v9, 0x3e088382
	;; [unrolled: 1-line block ×3, first 2 shown]
	v_mul_f32_e64 v9, |v7|, v9
	v_fma_f32 v8, v8, v9, |v7|
	s_branch .LBB19_2
.LBB19_7:
	s_endpgm
	.section	.rodata,"a",@progbits
	.p2align	6, 0x0
	.amdhsa_kernel _ZN4vllm17activation_kernelIN3c104HalfETnPFT_RKS3_EXadL_ZNS_15gelu_new_kernelIS2_EES3_S5_EEEEvPS3_PS4_i
		.amdhsa_group_segment_fixed_size 0
		.amdhsa_private_segment_fixed_size 0
		.amdhsa_kernarg_size 280
		.amdhsa_user_sgpr_count 2
		.amdhsa_user_sgpr_dispatch_ptr 0
		.amdhsa_user_sgpr_queue_ptr 0
		.amdhsa_user_sgpr_kernarg_segment_ptr 1
		.amdhsa_user_sgpr_dispatch_id 0
		.amdhsa_user_sgpr_kernarg_preload_length 0
		.amdhsa_user_sgpr_kernarg_preload_offset 0
		.amdhsa_user_sgpr_private_segment_size 0
		.amdhsa_uses_dynamic_stack 0
		.amdhsa_enable_private_segment 0
		.amdhsa_system_sgpr_workgroup_id_x 1
		.amdhsa_system_sgpr_workgroup_id_y 0
		.amdhsa_system_sgpr_workgroup_id_z 0
		.amdhsa_system_sgpr_workgroup_info 0
		.amdhsa_system_vgpr_workitem_id 0
		.amdhsa_next_free_vgpr 12
		.amdhsa_next_free_sgpr 24
		.amdhsa_accum_offset 12
		.amdhsa_reserve_vcc 1
		.amdhsa_float_round_mode_32 0
		.amdhsa_float_round_mode_16_64 0
		.amdhsa_float_denorm_mode_32 3
		.amdhsa_float_denorm_mode_16_64 3
		.amdhsa_dx10_clamp 1
		.amdhsa_ieee_mode 1
		.amdhsa_fp16_overflow 0
		.amdhsa_tg_split 0
		.amdhsa_exception_fp_ieee_invalid_op 0
		.amdhsa_exception_fp_denorm_src 0
		.amdhsa_exception_fp_ieee_div_zero 0
		.amdhsa_exception_fp_ieee_overflow 0
		.amdhsa_exception_fp_ieee_underflow 0
		.amdhsa_exception_fp_ieee_inexact 0
		.amdhsa_exception_int_div_zero 0
	.end_amdhsa_kernel
	.section	.text._ZN4vllm17activation_kernelIN3c104HalfETnPFT_RKS3_EXadL_ZNS_15gelu_new_kernelIS2_EES3_S5_EEEEvPS3_PS4_i,"axG",@progbits,_ZN4vllm17activation_kernelIN3c104HalfETnPFT_RKS3_EXadL_ZNS_15gelu_new_kernelIS2_EES3_S5_EEEEvPS3_PS4_i,comdat
.Lfunc_end19:
	.size	_ZN4vllm17activation_kernelIN3c104HalfETnPFT_RKS3_EXadL_ZNS_15gelu_new_kernelIS2_EES3_S5_EEEEvPS3_PS4_i, .Lfunc_end19-_ZN4vllm17activation_kernelIN3c104HalfETnPFT_RKS3_EXadL_ZNS_15gelu_new_kernelIS2_EES3_S5_EEEEvPS3_PS4_i
                                        ; -- End function
	.set _ZN4vllm17activation_kernelIN3c104HalfETnPFT_RKS3_EXadL_ZNS_15gelu_new_kernelIS2_EES3_S5_EEEEvPS3_PS4_i.num_vgpr, 12
	.set _ZN4vllm17activation_kernelIN3c104HalfETnPFT_RKS3_EXadL_ZNS_15gelu_new_kernelIS2_EES3_S5_EEEEvPS3_PS4_i.num_agpr, 0
	.set _ZN4vllm17activation_kernelIN3c104HalfETnPFT_RKS3_EXadL_ZNS_15gelu_new_kernelIS2_EES3_S5_EEEEvPS3_PS4_i.numbered_sgpr, 24
	.set _ZN4vllm17activation_kernelIN3c104HalfETnPFT_RKS3_EXadL_ZNS_15gelu_new_kernelIS2_EES3_S5_EEEEvPS3_PS4_i.num_named_barrier, 0
	.set _ZN4vllm17activation_kernelIN3c104HalfETnPFT_RKS3_EXadL_ZNS_15gelu_new_kernelIS2_EES3_S5_EEEEvPS3_PS4_i.private_seg_size, 0
	.set _ZN4vllm17activation_kernelIN3c104HalfETnPFT_RKS3_EXadL_ZNS_15gelu_new_kernelIS2_EES3_S5_EEEEvPS3_PS4_i.uses_vcc, 1
	.set _ZN4vllm17activation_kernelIN3c104HalfETnPFT_RKS3_EXadL_ZNS_15gelu_new_kernelIS2_EES3_S5_EEEEvPS3_PS4_i.uses_flat_scratch, 0
	.set _ZN4vllm17activation_kernelIN3c104HalfETnPFT_RKS3_EXadL_ZNS_15gelu_new_kernelIS2_EES3_S5_EEEEvPS3_PS4_i.has_dyn_sized_stack, 0
	.set _ZN4vllm17activation_kernelIN3c104HalfETnPFT_RKS3_EXadL_ZNS_15gelu_new_kernelIS2_EES3_S5_EEEEvPS3_PS4_i.has_recursion, 0
	.set _ZN4vllm17activation_kernelIN3c104HalfETnPFT_RKS3_EXadL_ZNS_15gelu_new_kernelIS2_EES3_S5_EEEEvPS3_PS4_i.has_indirect_call, 0
	.section	.AMDGPU.csdata,"",@progbits
; Kernel info:
; codeLenInByte = 508
; TotalNumSgprs: 30
; NumVgprs: 12
; NumAgprs: 0
; TotalNumVgprs: 12
; ScratchSize: 0
; MemoryBound: 0
; FloatMode: 240
; IeeeMode: 1
; LDSByteSize: 0 bytes/workgroup (compile time only)
; SGPRBlocks: 3
; VGPRBlocks: 1
; NumSGPRsForWavesPerEU: 30
; NumVGPRsForWavesPerEU: 12
; AccumOffset: 12
; Occupancy: 8
; WaveLimiterHint : 0
; COMPUTE_PGM_RSRC2:SCRATCH_EN: 0
; COMPUTE_PGM_RSRC2:USER_SGPR: 2
; COMPUTE_PGM_RSRC2:TRAP_HANDLER: 0
; COMPUTE_PGM_RSRC2:TGID_X_EN: 1
; COMPUTE_PGM_RSRC2:TGID_Y_EN: 0
; COMPUTE_PGM_RSRC2:TGID_Z_EN: 0
; COMPUTE_PGM_RSRC2:TIDIG_COMP_CNT: 0
; COMPUTE_PGM_RSRC3_GFX90A:ACCUM_OFFSET: 2
; COMPUTE_PGM_RSRC3_GFX90A:TG_SPLIT: 0
	.section	.text._ZN4vllm17activation_kernelIN3c108BFloat16ETnPFT_RKS3_EXadL_ZNS_15gelu_new_kernelIS2_EES3_S5_EEEEvPS3_PS4_i,"axG",@progbits,_ZN4vllm17activation_kernelIN3c108BFloat16ETnPFT_RKS3_EXadL_ZNS_15gelu_new_kernelIS2_EES3_S5_EEEEvPS3_PS4_i,comdat
	.protected	_ZN4vllm17activation_kernelIN3c108BFloat16ETnPFT_RKS3_EXadL_ZNS_15gelu_new_kernelIS2_EES3_S5_EEEEvPS3_PS4_i ; -- Begin function _ZN4vllm17activation_kernelIN3c108BFloat16ETnPFT_RKS3_EXadL_ZNS_15gelu_new_kernelIS2_EES3_S5_EEEEvPS3_PS4_i
	.globl	_ZN4vllm17activation_kernelIN3c108BFloat16ETnPFT_RKS3_EXadL_ZNS_15gelu_new_kernelIS2_EES3_S5_EEEEvPS3_PS4_i
	.p2align	8
	.type	_ZN4vllm17activation_kernelIN3c108BFloat16ETnPFT_RKS3_EXadL_ZNS_15gelu_new_kernelIS2_EES3_S5_EEEEvPS3_PS4_i,@function
_ZN4vllm17activation_kernelIN3c108BFloat16ETnPFT_RKS3_EXadL_ZNS_15gelu_new_kernelIS2_EES3_S5_EEEEvPS3_PS4_i: ; @_ZN4vllm17activation_kernelIN3c108BFloat16ETnPFT_RKS3_EXadL_ZNS_15gelu_new_kernelIS2_EES3_S5_EEEEvPS3_PS4_i
; %bb.0:
	s_load_dword s8, s[0:1], 0x10
	s_waitcnt lgkmcnt(0)
	v_cmp_gt_i32_e32 vcc, s8, v0
	s_and_saveexec_b64 s[4:5], vcc
	s_cbranch_execz .LBB20_7
; %bb.1:
	s_load_dword s3, s[0:1], 0x24
	s_load_dwordx4 s[4:7], s[0:1], 0x0
	s_ashr_i32 s9, s8, 31
	v_mov_b32_e32 v1, 0
	v_mov_b32_e32 v2, s2
	s_waitcnt lgkmcnt(0)
	s_and_b32 s0, s3, 0xffff
	s_mul_i32 s10, s9, s2
	v_mad_u64_u32 v[2:3], s[2:3], s8, v2, v[0:1]
	s_mov_b32 s1, 0
	v_add_u32_e32 v3, s10, v3
                                        ; implicit-def: $vgpr6
                                        ; implicit-def: $vgpr6
	;; [unrolled: 1-line block ×3, first 2 shown]
	v_lshlrev_b64 v[2:3], 1, v[2:3]
	s_lshl_b32 s2, s0, 1
	s_mov_b32 s3, s1
	s_mov_b64 s[10:11], 0
	s_movk_i32 s14, 0x7fff
	v_mov_b32_e32 v4, 0x7fc00000
	s_mov_b32 s15, 0x3f200000
	s_mov_b32 s16, 0x3fb8aa3b
	;; [unrolled: 1-line block ×4, first 2 shown]
	v_mov_b32_e32 v5, 0x3ca908c9
	s_brev_b32 s19, -2
	v_mov_b32_e32 v6, 0x7fc0
	v_mov_b32_e32 v7, 0x7f800000
	;; [unrolled: 1-line block ×3, first 2 shown]
	s_branch .LBB20_3
.LBB20_2:                               ;   in Loop: Header=BB20_3 Depth=1
	s_or_b64 exec, exec, s[12:13]
	v_bfi_b32 v10, s19, v11, v10
	v_bfe_u32 v11, v10, 16, 1
	v_add3_u32 v11, v10, v11, s14
	v_and_b32_e32 v11, 0xffff0000, v11
	v_add_f32_e32 v11, 1.0, v11
	v_cmp_o_f32_e32 vcc, v10, v10
	v_mul_f32_e32 v9, 0.5, v9
	v_and_b32_sdwa v12, v9, v8 dst_sel:DWORD dst_unused:UNUSED_PAD src0_sel:WORD_1 src1_sel:DWORD
	v_cndmask_b32_e32 v10, v4, v11, vcc
	v_and_b32_sdwa v11, v10, v8 dst_sel:DWORD dst_unused:UNUSED_PAD src0_sel:WORD_1 src1_sel:DWORD
	v_add3_u32 v11, v10, v11, s14
	v_add3_u32 v12, v9, v12, s14
	v_and_b32_e32 v11, 0xffff0000, v11
	v_cmp_o_f32_e32 vcc, v10, v10
	v_and_b32_e32 v12, 0xffff0000, v12
	v_lshl_add_u64 v[0:1], v[0:1], 0, s[0:1]
	v_cndmask_b32_e32 v10, v4, v11, vcc
	v_cmp_o_f32_e32 vcc, v9, v9
	s_nop 1
	v_cndmask_b32_e32 v9, v4, v12, vcc
	v_mul_f32_e32 v9, v9, v10
	v_bfe_u32 v10, v9, 16, 1
	v_add3_u32 v10, v9, v10, s14
	v_cmp_o_f32_e32 vcc, v9, v9
	s_nop 1
	v_cndmask_b32_sdwa v9, v6, v10, vcc dst_sel:DWORD dst_unused:UNUSED_PAD src0_sel:DWORD src1_sel:WORD_1
	v_cmp_le_i64_e32 vcc, s[8:9], v[0:1]
	v_lshl_add_u64 v[10:11], s[4:5], 0, v[2:3]
	s_or_b64 s[10:11], vcc, s[10:11]
	v_lshl_add_u64 v[2:3], v[2:3], 0, s[2:3]
	global_store_short v[10:11], v9, off
	s_andn2_b64 exec, exec, s[10:11]
	s_cbranch_execz .LBB20_7
.LBB20_3:                               ; =>This Inner Loop Header: Depth=1
	v_lshl_add_u64 v[10:11], s[6:7], 0, v[2:3]
	global_load_ushort v9, v[10:11], off
	s_waitcnt vmcnt(0)
	v_lshlrev_b32_e32 v9, 16, v9
	v_mul_f32_e32 v10, v9, v9
	v_bfe_u32 v11, v10, 16, 1
	v_add3_u32 v11, v10, v11, s14
	v_and_b32_e32 v11, 0xffff0000, v11
	v_cmp_o_f32_e32 vcc, v10, v10
	s_nop 1
	v_cndmask_b32_e32 v10, v4, v11, vcc
	v_mul_f32_e32 v10, v10, v9
	v_bfe_u32 v11, v10, 16, 1
	v_add3_u32 v11, v10, v11, s14
	v_and_b32_e32 v11, 0xffff0000, v11
	v_mul_f32_e32 v11, 0x3d372713, v11
	v_cmp_o_f32_e32 vcc, v10, v10
	s_nop 1
	v_cndmask_b32_e32 v10, v4, v11, vcc
	v_bfe_u32 v11, v10, 16, 1
	v_add3_u32 v11, v10, v11, s14
	v_and_b32_e32 v11, 0xffff0000, v11
	v_cmp_o_f32_e32 vcc, v10, v10
	s_nop 1
	v_cndmask_b32_e32 v10, v4, v11, vcc
	v_add_f32_e32 v10, v10, v9
	v_bfe_u32 v11, v10, 16, 1
	v_add3_u32 v11, v10, v11, s14
	v_and_b32_e32 v11, 0xffff0000, v11
	v_mul_f32_e32 v11, 0x3f4c422a, v11
	v_cmp_o_f32_e32 vcc, v10, v10
	s_nop 1
	v_cndmask_b32_e32 v10, v4, v11, vcc
	v_bfe_u32 v11, v10, 16, 1
	v_add3_u32 v11, v10, v11, s14
	v_and_b32_e32 v11, 0xffff0000, v11
	v_cmp_o_f32_e32 vcc, v10, v10
	s_nop 1
	v_cndmask_b32_e32 v10, v4, v11, vcc
	v_cmp_nlt_f32_e64 s[12:13], |v10|, s15
                                        ; implicit-def: $vgpr11
	s_and_saveexec_b64 s[20:21], s[12:13]
	s_xor_b64 s[12:13], exec, s[20:21]
	s_cbranch_execz .LBB20_5
; %bb.4:                                ;   in Loop: Header=BB20_3 Depth=1
	v_add_f32_e64 v11, |v10|, |v10|
	v_mul_f32_e32 v12, 0x3fb8aa3b, v11
	v_rndne_f32_e32 v13, v12
	v_sub_f32_e32 v14, v12, v13
	v_fma_f32 v12, v11, s16, -v12
	v_fmac_f32_e32 v12, 0x32a5705f, v11
	v_add_f32_e32 v12, v14, v12
	v_cvt_i32_f32_e32 v13, v13
	v_exp_f32_e32 v12, v12
	v_cmp_ngt_f32_e32 vcc, s17, v11
	v_ldexp_f32 v12, v12, v13
	s_nop 0
	v_cndmask_b32_e32 v12, 0, v12, vcc
	v_cmp_nlt_f32_e32 vcc, s18, v11
	s_nop 1
	v_cndmask_b32_e32 v11, v7, v12, vcc
	v_add_f32_e32 v11, 1.0, v11
	v_rcp_f32_e32 v11, v11
	s_nop 0
	v_fma_f32 v11, v11, -2.0, 1.0
.LBB20_5:                               ;   in Loop: Header=BB20_3 Depth=1
	s_andn2_saveexec_b64 s[12:13], s[12:13]
	s_cbranch_execz .LBB20_2
; %bb.6:                                ;   in Loop: Header=BB20_3 Depth=1
	v_mul_f32_e32 v11, v10, v10
	v_fmamk_f32 v12, v11, 0xbbbac73d, v5
	v_fmaak_f32 v12, v11, v12, 0xbd5c1c4e
	v_fmaak_f32 v12, v11, v12, 0x3e088382
	;; [unrolled: 1-line block ×3, first 2 shown]
	v_mul_f32_e64 v12, |v10|, v12
	v_fma_f32 v11, v11, v12, |v10|
	s_branch .LBB20_2
.LBB20_7:
	s_endpgm
	.section	.rodata,"a",@progbits
	.p2align	6, 0x0
	.amdhsa_kernel _ZN4vllm17activation_kernelIN3c108BFloat16ETnPFT_RKS3_EXadL_ZNS_15gelu_new_kernelIS2_EES3_S5_EEEEvPS3_PS4_i
		.amdhsa_group_segment_fixed_size 0
		.amdhsa_private_segment_fixed_size 0
		.amdhsa_kernarg_size 280
		.amdhsa_user_sgpr_count 2
		.amdhsa_user_sgpr_dispatch_ptr 0
		.amdhsa_user_sgpr_queue_ptr 0
		.amdhsa_user_sgpr_kernarg_segment_ptr 1
		.amdhsa_user_sgpr_dispatch_id 0
		.amdhsa_user_sgpr_kernarg_preload_length 0
		.amdhsa_user_sgpr_kernarg_preload_offset 0
		.amdhsa_user_sgpr_private_segment_size 0
		.amdhsa_uses_dynamic_stack 0
		.amdhsa_enable_private_segment 0
		.amdhsa_system_sgpr_workgroup_id_x 1
		.amdhsa_system_sgpr_workgroup_id_y 0
		.amdhsa_system_sgpr_workgroup_id_z 0
		.amdhsa_system_sgpr_workgroup_info 0
		.amdhsa_system_vgpr_workitem_id 0
		.amdhsa_next_free_vgpr 15
		.amdhsa_next_free_sgpr 22
		.amdhsa_accum_offset 16
		.amdhsa_reserve_vcc 1
		.amdhsa_float_round_mode_32 0
		.amdhsa_float_round_mode_16_64 0
		.amdhsa_float_denorm_mode_32 3
		.amdhsa_float_denorm_mode_16_64 3
		.amdhsa_dx10_clamp 1
		.amdhsa_ieee_mode 1
		.amdhsa_fp16_overflow 0
		.amdhsa_tg_split 0
		.amdhsa_exception_fp_ieee_invalid_op 0
		.amdhsa_exception_fp_denorm_src 0
		.amdhsa_exception_fp_ieee_div_zero 0
		.amdhsa_exception_fp_ieee_overflow 0
		.amdhsa_exception_fp_ieee_underflow 0
		.amdhsa_exception_fp_ieee_inexact 0
		.amdhsa_exception_int_div_zero 0
	.end_amdhsa_kernel
	.section	.text._ZN4vllm17activation_kernelIN3c108BFloat16ETnPFT_RKS3_EXadL_ZNS_15gelu_new_kernelIS2_EES3_S5_EEEEvPS3_PS4_i,"axG",@progbits,_ZN4vllm17activation_kernelIN3c108BFloat16ETnPFT_RKS3_EXadL_ZNS_15gelu_new_kernelIS2_EES3_S5_EEEEvPS3_PS4_i,comdat
.Lfunc_end20:
	.size	_ZN4vllm17activation_kernelIN3c108BFloat16ETnPFT_RKS3_EXadL_ZNS_15gelu_new_kernelIS2_EES3_S5_EEEEvPS3_PS4_i, .Lfunc_end20-_ZN4vllm17activation_kernelIN3c108BFloat16ETnPFT_RKS3_EXadL_ZNS_15gelu_new_kernelIS2_EES3_S5_EEEEvPS3_PS4_i
                                        ; -- End function
	.set _ZN4vllm17activation_kernelIN3c108BFloat16ETnPFT_RKS3_EXadL_ZNS_15gelu_new_kernelIS2_EES3_S5_EEEEvPS3_PS4_i.num_vgpr, 15
	.set _ZN4vllm17activation_kernelIN3c108BFloat16ETnPFT_RKS3_EXadL_ZNS_15gelu_new_kernelIS2_EES3_S5_EEEEvPS3_PS4_i.num_agpr, 0
	.set _ZN4vllm17activation_kernelIN3c108BFloat16ETnPFT_RKS3_EXadL_ZNS_15gelu_new_kernelIS2_EES3_S5_EEEEvPS3_PS4_i.numbered_sgpr, 22
	.set _ZN4vllm17activation_kernelIN3c108BFloat16ETnPFT_RKS3_EXadL_ZNS_15gelu_new_kernelIS2_EES3_S5_EEEEvPS3_PS4_i.num_named_barrier, 0
	.set _ZN4vllm17activation_kernelIN3c108BFloat16ETnPFT_RKS3_EXadL_ZNS_15gelu_new_kernelIS2_EES3_S5_EEEEvPS3_PS4_i.private_seg_size, 0
	.set _ZN4vllm17activation_kernelIN3c108BFloat16ETnPFT_RKS3_EXadL_ZNS_15gelu_new_kernelIS2_EES3_S5_EEEEvPS3_PS4_i.uses_vcc, 1
	.set _ZN4vllm17activation_kernelIN3c108BFloat16ETnPFT_RKS3_EXadL_ZNS_15gelu_new_kernelIS2_EES3_S5_EEEEvPS3_PS4_i.uses_flat_scratch, 0
	.set _ZN4vllm17activation_kernelIN3c108BFloat16ETnPFT_RKS3_EXadL_ZNS_15gelu_new_kernelIS2_EES3_S5_EEEEvPS3_PS4_i.has_dyn_sized_stack, 0
	.set _ZN4vllm17activation_kernelIN3c108BFloat16ETnPFT_RKS3_EXadL_ZNS_15gelu_new_kernelIS2_EES3_S5_EEEEvPS3_PS4_i.has_recursion, 0
	.set _ZN4vllm17activation_kernelIN3c108BFloat16ETnPFT_RKS3_EXadL_ZNS_15gelu_new_kernelIS2_EES3_S5_EEEEvPS3_PS4_i.has_indirect_call, 0
	.section	.AMDGPU.csdata,"",@progbits
; Kernel info:
; codeLenInByte = 812
; TotalNumSgprs: 28
; NumVgprs: 15
; NumAgprs: 0
; TotalNumVgprs: 15
; ScratchSize: 0
; MemoryBound: 0
; FloatMode: 240
; IeeeMode: 1
; LDSByteSize: 0 bytes/workgroup (compile time only)
; SGPRBlocks: 3
; VGPRBlocks: 1
; NumSGPRsForWavesPerEU: 28
; NumVGPRsForWavesPerEU: 15
; AccumOffset: 16
; Occupancy: 8
; WaveLimiterHint : 0
; COMPUTE_PGM_RSRC2:SCRATCH_EN: 0
; COMPUTE_PGM_RSRC2:USER_SGPR: 2
; COMPUTE_PGM_RSRC2:TRAP_HANDLER: 0
; COMPUTE_PGM_RSRC2:TGID_X_EN: 1
; COMPUTE_PGM_RSRC2:TGID_Y_EN: 0
; COMPUTE_PGM_RSRC2:TGID_Z_EN: 0
; COMPUTE_PGM_RSRC2:TIDIG_COMP_CNT: 0
; COMPUTE_PGM_RSRC3_GFX90A:ACCUM_OFFSET: 3
; COMPUTE_PGM_RSRC3_GFX90A:TG_SPLIT: 0
	.section	.text._ZN4vllm17activation_kernelIfTnPFT_RKS1_EXadL_ZNS_16gelu_fast_kernelIfEES1_S3_EEEEvPS1_PS2_i,"axG",@progbits,_ZN4vllm17activation_kernelIfTnPFT_RKS1_EXadL_ZNS_16gelu_fast_kernelIfEES1_S3_EEEEvPS1_PS2_i,comdat
	.protected	_ZN4vllm17activation_kernelIfTnPFT_RKS1_EXadL_ZNS_16gelu_fast_kernelIfEES1_S3_EEEEvPS1_PS2_i ; -- Begin function _ZN4vllm17activation_kernelIfTnPFT_RKS1_EXadL_ZNS_16gelu_fast_kernelIfEES1_S3_EEEEvPS1_PS2_i
	.globl	_ZN4vllm17activation_kernelIfTnPFT_RKS1_EXadL_ZNS_16gelu_fast_kernelIfEES1_S3_EEEEvPS1_PS2_i
	.p2align	8
	.type	_ZN4vllm17activation_kernelIfTnPFT_RKS1_EXadL_ZNS_16gelu_fast_kernelIfEES1_S3_EEEEvPS1_PS2_i,@function
_ZN4vllm17activation_kernelIfTnPFT_RKS1_EXadL_ZNS_16gelu_fast_kernelIfEES1_S3_EEEEvPS1_PS2_i: ; @_ZN4vllm17activation_kernelIfTnPFT_RKS1_EXadL_ZNS_16gelu_fast_kernelIfEES1_S3_EEEEvPS1_PS2_i
; %bb.0:
	s_load_dword s8, s[0:1], 0x10
	s_waitcnt lgkmcnt(0)
	v_cmp_gt_i32_e32 vcc, s8, v0
	s_and_saveexec_b64 s[4:5], vcc
	s_cbranch_execz .LBB21_7
; %bb.1:
	s_load_dword s3, s[0:1], 0x24
	s_load_dwordx4 s[4:7], s[0:1], 0x0
	s_ashr_i32 s9, s8, 31
	v_mov_b32_e32 v1, 0
	v_mov_b32_e32 v2, s2
	s_waitcnt lgkmcnt(0)
	s_and_b32 s0, s3, 0xffff
	s_mul_i32 s10, s9, s2
	v_mad_u64_u32 v[2:3], s[2:3], s8, v2, v[0:1]
	s_mov_b32 s1, 0
	v_add_u32_e32 v3, s10, v3
                                        ; implicit-def: $vgpr5
                                        ; implicit-def: $vgpr5
	;; [unrolled: 1-line block ×3, first 2 shown]
	v_lshlrev_b64 v[2:3], 2, v[2:3]
	s_lshl_b32 s2, s0, 2
	s_mov_b32 s3, s1
	s_mov_b64 s[10:11], 0
	s_mov_b32 s14, 0x3f200000
	s_mov_b32 s15, 0x3fb8aa3b
	;; [unrolled: 1-line block ×4, first 2 shown]
	v_mov_b32_e32 v4, 0x3ca908c9
	s_brev_b32 s18, -2
	v_mov_b32_e32 v5, 0x7f800000
	s_branch .LBB21_3
.LBB21_2:                               ;   in Loop: Header=BB21_3 Depth=1
	s_or_b64 exec, exec, s[12:13]
	v_bfi_b32 v7, s18, v8, v7
	v_lshl_add_u64 v[0:1], v[0:1], 0, s[0:1]
	v_mul_f32_e32 v6, 0.5, v6
	v_add_f32_e32 v7, 1.0, v7
	v_cmp_le_i64_e32 vcc, s[8:9], v[0:1]
	v_mul_f32_e32 v8, v6, v7
	v_lshl_add_u64 v[6:7], s[4:5], 0, v[2:3]
	s_or_b64 s[10:11], vcc, s[10:11]
	v_lshl_add_u64 v[2:3], v[2:3], 0, s[2:3]
	global_store_dword v[6:7], v8, off
	s_andn2_b64 exec, exec, s[10:11]
	s_cbranch_execz .LBB21_7
.LBB21_3:                               ; =>This Inner Loop Header: Depth=1
	v_lshl_add_u64 v[6:7], s[6:7], 0, v[2:3]
	global_load_dword v6, v[6:7], off
	s_waitcnt vmcnt(0)
	v_mul_f32_e32 v8, 0x3d372713, v6
	v_mul_f32_e32 v7, 0x3f4c422a, v6
	v_fma_f32 v8, v6, v8, 1.0
	v_mul_f32_e32 v7, v7, v8
	v_cmp_nlt_f32_e64 s[12:13], |v7|, s14
                                        ; implicit-def: $vgpr8
	s_and_saveexec_b64 s[20:21], s[12:13]
	s_xor_b64 s[12:13], exec, s[20:21]
	s_cbranch_execz .LBB21_5
; %bb.4:                                ;   in Loop: Header=BB21_3 Depth=1
	v_add_f32_e64 v8, |v7|, |v7|
	v_mul_f32_e32 v9, 0x3fb8aa3b, v8
	v_rndne_f32_e32 v10, v9
	v_sub_f32_e32 v11, v9, v10
	v_fma_f32 v9, v8, s15, -v9
	v_fmac_f32_e32 v9, 0x32a5705f, v8
	v_add_f32_e32 v9, v11, v9
	v_cvt_i32_f32_e32 v10, v10
	v_exp_f32_e32 v9, v9
	v_cmp_ngt_f32_e32 vcc, s16, v8
	v_ldexp_f32 v9, v9, v10
	s_nop 0
	v_cndmask_b32_e32 v9, 0, v9, vcc
	v_cmp_nlt_f32_e32 vcc, s17, v8
	s_nop 1
	v_cndmask_b32_e32 v8, v5, v9, vcc
	v_add_f32_e32 v8, 1.0, v8
	v_rcp_f32_e32 v8, v8
	s_nop 0
	v_fma_f32 v8, v8, -2.0, 1.0
.LBB21_5:                               ;   in Loop: Header=BB21_3 Depth=1
	s_andn2_saveexec_b64 s[12:13], s[12:13]
	s_cbranch_execz .LBB21_2
; %bb.6:                                ;   in Loop: Header=BB21_3 Depth=1
	v_mul_f32_e32 v8, v7, v7
	v_fmamk_f32 v9, v8, 0xbbbac73d, v4
	v_fmaak_f32 v9, v8, v9, 0xbd5c1c4e
	v_fmaak_f32 v9, v8, v9, 0x3e088382
	;; [unrolled: 1-line block ×3, first 2 shown]
	v_mul_f32_e64 v9, |v7|, v9
	v_fma_f32 v8, v8, v9, |v7|
	s_branch .LBB21_2
.LBB21_7:
	s_endpgm
	.section	.rodata,"a",@progbits
	.p2align	6, 0x0
	.amdhsa_kernel _ZN4vllm17activation_kernelIfTnPFT_RKS1_EXadL_ZNS_16gelu_fast_kernelIfEES1_S3_EEEEvPS1_PS2_i
		.amdhsa_group_segment_fixed_size 0
		.amdhsa_private_segment_fixed_size 0
		.amdhsa_kernarg_size 280
		.amdhsa_user_sgpr_count 2
		.amdhsa_user_sgpr_dispatch_ptr 0
		.amdhsa_user_sgpr_queue_ptr 0
		.amdhsa_user_sgpr_kernarg_segment_ptr 1
		.amdhsa_user_sgpr_dispatch_id 0
		.amdhsa_user_sgpr_kernarg_preload_length 0
		.amdhsa_user_sgpr_kernarg_preload_offset 0
		.amdhsa_user_sgpr_private_segment_size 0
		.amdhsa_uses_dynamic_stack 0
		.amdhsa_enable_private_segment 0
		.amdhsa_system_sgpr_workgroup_id_x 1
		.amdhsa_system_sgpr_workgroup_id_y 0
		.amdhsa_system_sgpr_workgroup_id_z 0
		.amdhsa_system_sgpr_workgroup_info 0
		.amdhsa_system_vgpr_workitem_id 0
		.amdhsa_next_free_vgpr 12
		.amdhsa_next_free_sgpr 22
		.amdhsa_accum_offset 12
		.amdhsa_reserve_vcc 1
		.amdhsa_float_round_mode_32 0
		.amdhsa_float_round_mode_16_64 0
		.amdhsa_float_denorm_mode_32 3
		.amdhsa_float_denorm_mode_16_64 3
		.amdhsa_dx10_clamp 1
		.amdhsa_ieee_mode 1
		.amdhsa_fp16_overflow 0
		.amdhsa_tg_split 0
		.amdhsa_exception_fp_ieee_invalid_op 0
		.amdhsa_exception_fp_denorm_src 0
		.amdhsa_exception_fp_ieee_div_zero 0
		.amdhsa_exception_fp_ieee_overflow 0
		.amdhsa_exception_fp_ieee_underflow 0
		.amdhsa_exception_fp_ieee_inexact 0
		.amdhsa_exception_int_div_zero 0
	.end_amdhsa_kernel
	.section	.text._ZN4vllm17activation_kernelIfTnPFT_RKS1_EXadL_ZNS_16gelu_fast_kernelIfEES1_S3_EEEEvPS1_PS2_i,"axG",@progbits,_ZN4vllm17activation_kernelIfTnPFT_RKS1_EXadL_ZNS_16gelu_fast_kernelIfEES1_S3_EEEEvPS1_PS2_i,comdat
.Lfunc_end21:
	.size	_ZN4vllm17activation_kernelIfTnPFT_RKS1_EXadL_ZNS_16gelu_fast_kernelIfEES1_S3_EEEEvPS1_PS2_i, .Lfunc_end21-_ZN4vllm17activation_kernelIfTnPFT_RKS1_EXadL_ZNS_16gelu_fast_kernelIfEES1_S3_EEEEvPS1_PS2_i
                                        ; -- End function
	.set _ZN4vllm17activation_kernelIfTnPFT_RKS1_EXadL_ZNS_16gelu_fast_kernelIfEES1_S3_EEEEvPS1_PS2_i.num_vgpr, 12
	.set _ZN4vllm17activation_kernelIfTnPFT_RKS1_EXadL_ZNS_16gelu_fast_kernelIfEES1_S3_EEEEvPS1_PS2_i.num_agpr, 0
	.set _ZN4vllm17activation_kernelIfTnPFT_RKS1_EXadL_ZNS_16gelu_fast_kernelIfEES1_S3_EEEEvPS1_PS2_i.numbered_sgpr, 22
	.set _ZN4vllm17activation_kernelIfTnPFT_RKS1_EXadL_ZNS_16gelu_fast_kernelIfEES1_S3_EEEEvPS1_PS2_i.num_named_barrier, 0
	.set _ZN4vllm17activation_kernelIfTnPFT_RKS1_EXadL_ZNS_16gelu_fast_kernelIfEES1_S3_EEEEvPS1_PS2_i.private_seg_size, 0
	.set _ZN4vllm17activation_kernelIfTnPFT_RKS1_EXadL_ZNS_16gelu_fast_kernelIfEES1_S3_EEEEvPS1_PS2_i.uses_vcc, 1
	.set _ZN4vllm17activation_kernelIfTnPFT_RKS1_EXadL_ZNS_16gelu_fast_kernelIfEES1_S3_EEEEvPS1_PS2_i.uses_flat_scratch, 0
	.set _ZN4vllm17activation_kernelIfTnPFT_RKS1_EXadL_ZNS_16gelu_fast_kernelIfEES1_S3_EEEEvPS1_PS2_i.has_dyn_sized_stack, 0
	.set _ZN4vllm17activation_kernelIfTnPFT_RKS1_EXadL_ZNS_16gelu_fast_kernelIfEES1_S3_EEEEvPS1_PS2_i.has_recursion, 0
	.set _ZN4vllm17activation_kernelIfTnPFT_RKS1_EXadL_ZNS_16gelu_fast_kernelIfEES1_S3_EEEEvPS1_PS2_i.has_indirect_call, 0
	.section	.AMDGPU.csdata,"",@progbits
; Kernel info:
; codeLenInByte = 472
; TotalNumSgprs: 28
; NumVgprs: 12
; NumAgprs: 0
; TotalNumVgprs: 12
; ScratchSize: 0
; MemoryBound: 0
; FloatMode: 240
; IeeeMode: 1
; LDSByteSize: 0 bytes/workgroup (compile time only)
; SGPRBlocks: 3
; VGPRBlocks: 1
; NumSGPRsForWavesPerEU: 28
; NumVGPRsForWavesPerEU: 12
; AccumOffset: 12
; Occupancy: 8
; WaveLimiterHint : 0
; COMPUTE_PGM_RSRC2:SCRATCH_EN: 0
; COMPUTE_PGM_RSRC2:USER_SGPR: 2
; COMPUTE_PGM_RSRC2:TRAP_HANDLER: 0
; COMPUTE_PGM_RSRC2:TGID_X_EN: 1
; COMPUTE_PGM_RSRC2:TGID_Y_EN: 0
; COMPUTE_PGM_RSRC2:TGID_Z_EN: 0
; COMPUTE_PGM_RSRC2:TIDIG_COMP_CNT: 0
; COMPUTE_PGM_RSRC3_GFX90A:ACCUM_OFFSET: 2
; COMPUTE_PGM_RSRC3_GFX90A:TG_SPLIT: 0
	.section	.text._ZN4vllm17activation_kernelIN3c104HalfETnPFT_RKS3_EXadL_ZNS_16gelu_fast_kernelIS2_EES3_S5_EEEEvPS3_PS4_i,"axG",@progbits,_ZN4vllm17activation_kernelIN3c104HalfETnPFT_RKS3_EXadL_ZNS_16gelu_fast_kernelIS2_EES3_S5_EEEEvPS3_PS4_i,comdat
	.protected	_ZN4vllm17activation_kernelIN3c104HalfETnPFT_RKS3_EXadL_ZNS_16gelu_fast_kernelIS2_EES3_S5_EEEEvPS3_PS4_i ; -- Begin function _ZN4vllm17activation_kernelIN3c104HalfETnPFT_RKS3_EXadL_ZNS_16gelu_fast_kernelIS2_EES3_S5_EEEEvPS3_PS4_i
	.globl	_ZN4vllm17activation_kernelIN3c104HalfETnPFT_RKS3_EXadL_ZNS_16gelu_fast_kernelIS2_EES3_S5_EEEEvPS3_PS4_i
	.p2align	8
	.type	_ZN4vllm17activation_kernelIN3c104HalfETnPFT_RKS3_EXadL_ZNS_16gelu_fast_kernelIS2_EES3_S5_EEEEvPS3_PS4_i,@function
_ZN4vllm17activation_kernelIN3c104HalfETnPFT_RKS3_EXadL_ZNS_16gelu_fast_kernelIS2_EES3_S5_EEEEvPS3_PS4_i: ; @_ZN4vllm17activation_kernelIN3c104HalfETnPFT_RKS3_EXadL_ZNS_16gelu_fast_kernelIS2_EES3_S5_EEEEvPS3_PS4_i
; %bb.0:
	s_load_dword s8, s[0:1], 0x10
	s_waitcnt lgkmcnt(0)
	v_cmp_gt_i32_e32 vcc, s8, v0
	s_and_saveexec_b64 s[4:5], vcc
	s_cbranch_execz .LBB22_7
; %bb.1:
	s_load_dword s3, s[0:1], 0x24
	s_load_dwordx4 s[4:7], s[0:1], 0x0
	s_ashr_i32 s9, s8, 31
	v_mov_b32_e32 v1, 0
	v_mov_b32_e32 v2, s2
	s_waitcnt lgkmcnt(0)
	s_and_b32 s0, s3, 0xffff
	s_mul_i32 s10, s9, s2
	v_mad_u64_u32 v[2:3], s[2:3], s8, v2, v[0:1]
	s_mov_b32 s1, 0
	v_add_u32_e32 v3, s10, v3
                                        ; implicit-def: $vgpr5
                                        ; implicit-def: $vgpr5
	;; [unrolled: 1-line block ×3, first 2 shown]
	v_lshlrev_b64 v[2:3], 1, v[2:3]
	s_lshl_b32 s2, s0, 1
	s_mov_b32 s3, s1
	s_mov_b64 s[10:11], 0
	s_mov_b32 s14, 0x3f4c422a
	s_mov_b32 s15, 0x3d372713
	;; [unrolled: 1-line block ×6, first 2 shown]
	v_mov_b32_e32 v4, 0x3ca908c9
	s_movk_i32 s20, 0x7fff
	v_mov_b32_e32 v5, 0x7f800000
	s_branch .LBB22_3
.LBB22_2:                               ;   in Loop: Header=BB22_3 Depth=1
	s_or_b64 exec, exec, s[12:13]
	v_cvt_f16_f32_e32 v8, v8
	v_lshrrev_b32_e32 v9, 16, v7
	v_lshl_add_u64 v[0:1], v[0:1], 0, s[0:1]
	v_mul_f16_e32 v10, 0.5, v6
	v_bfi_b32 v8, s20, v8, v9
	v_add_f16_e32 v8, 1.0, v8
	v_cmp_le_i64_e32 vcc, s[8:9], v[0:1]
	v_lshl_add_u64 v[6:7], s[4:5], 0, v[2:3]
	v_mul_f16_e32 v8, v10, v8
	s_or_b64 s[10:11], vcc, s[10:11]
	v_lshl_add_u64 v[2:3], v[2:3], 0, s[2:3]
	global_store_short v[6:7], v8, off
	s_andn2_b64 exec, exec, s[10:11]
	s_cbranch_execz .LBB22_7
.LBB22_3:                               ; =>This Inner Loop Header: Depth=1
	v_lshl_add_u64 v[6:7], s[6:7], 0, v[2:3]
	global_load_ushort v6, v[6:7], off
	s_waitcnt vmcnt(0)
	v_fma_mixlo_f16 v8, v6, s15, 0 op_sel_hi:[1,0,0]
	v_fma_mixlo_f16 v7, v6, s14, 0 op_sel_hi:[1,0,0]
	v_fma_f16 v8, v6, v8, 1.0
	v_mul_f16_e32 v7, v8, v7
	v_cvt_f32_f16_e32 v7, v7
                                        ; implicit-def: $vgpr8
	v_cmp_nlt_f32_e64 s[12:13], |v7|, s16
	s_and_saveexec_b64 s[22:23], s[12:13]
	s_xor_b64 s[12:13], exec, s[22:23]
	s_cbranch_execz .LBB22_5
; %bb.4:                                ;   in Loop: Header=BB22_3 Depth=1
	v_add_f32_e64 v8, |v7|, |v7|
	v_mul_f32_e32 v9, 0x3fb8aa3b, v8
	v_rndne_f32_e32 v10, v9
	v_sub_f32_e32 v11, v9, v10
	v_fma_f32 v9, v8, s17, -v9
	v_fmac_f32_e32 v9, 0x32a5705f, v8
	v_add_f32_e32 v9, v11, v9
	v_cvt_i32_f32_e32 v10, v10
	v_exp_f32_e32 v9, v9
	v_cmp_ngt_f32_e32 vcc, s18, v8
	v_ldexp_f32 v9, v9, v10
	s_nop 0
	v_cndmask_b32_e32 v9, 0, v9, vcc
	v_cmp_nlt_f32_e32 vcc, s19, v8
	s_nop 1
	v_cndmask_b32_e32 v8, v5, v9, vcc
	v_add_f32_e32 v8, 1.0, v8
	v_rcp_f32_e32 v8, v8
	s_nop 0
	v_fma_f32 v8, v8, -2.0, 1.0
.LBB22_5:                               ;   in Loop: Header=BB22_3 Depth=1
	s_andn2_saveexec_b64 s[12:13], s[12:13]
	s_cbranch_execz .LBB22_2
; %bb.6:                                ;   in Loop: Header=BB22_3 Depth=1
	v_mul_f32_e32 v8, v7, v7
	v_fmamk_f32 v9, v8, 0xbbbac73d, v4
	v_fmaak_f32 v9, v8, v9, 0xbd5c1c4e
	v_fmaak_f32 v9, v8, v9, 0x3e088382
	v_fmaak_f32 v9, v8, v9, 0xbeaaaa99
	v_mul_f32_e64 v9, |v7|, v9
	v_fma_f32 v8, v8, v9, |v7|
	s_branch .LBB22_2
.LBB22_7:
	s_endpgm
	.section	.rodata,"a",@progbits
	.p2align	6, 0x0
	.amdhsa_kernel _ZN4vllm17activation_kernelIN3c104HalfETnPFT_RKS3_EXadL_ZNS_16gelu_fast_kernelIS2_EES3_S5_EEEEvPS3_PS4_i
		.amdhsa_group_segment_fixed_size 0
		.amdhsa_private_segment_fixed_size 0
		.amdhsa_kernarg_size 280
		.amdhsa_user_sgpr_count 2
		.amdhsa_user_sgpr_dispatch_ptr 0
		.amdhsa_user_sgpr_queue_ptr 0
		.amdhsa_user_sgpr_kernarg_segment_ptr 1
		.amdhsa_user_sgpr_dispatch_id 0
		.amdhsa_user_sgpr_kernarg_preload_length 0
		.amdhsa_user_sgpr_kernarg_preload_offset 0
		.amdhsa_user_sgpr_private_segment_size 0
		.amdhsa_uses_dynamic_stack 0
		.amdhsa_enable_private_segment 0
		.amdhsa_system_sgpr_workgroup_id_x 1
		.amdhsa_system_sgpr_workgroup_id_y 0
		.amdhsa_system_sgpr_workgroup_id_z 0
		.amdhsa_system_sgpr_workgroup_info 0
		.amdhsa_system_vgpr_workitem_id 0
		.amdhsa_next_free_vgpr 12
		.amdhsa_next_free_sgpr 24
		.amdhsa_accum_offset 12
		.amdhsa_reserve_vcc 1
		.amdhsa_float_round_mode_32 0
		.amdhsa_float_round_mode_16_64 0
		.amdhsa_float_denorm_mode_32 3
		.amdhsa_float_denorm_mode_16_64 3
		.amdhsa_dx10_clamp 1
		.amdhsa_ieee_mode 1
		.amdhsa_fp16_overflow 0
		.amdhsa_tg_split 0
		.amdhsa_exception_fp_ieee_invalid_op 0
		.amdhsa_exception_fp_denorm_src 0
		.amdhsa_exception_fp_ieee_div_zero 0
		.amdhsa_exception_fp_ieee_overflow 0
		.amdhsa_exception_fp_ieee_underflow 0
		.amdhsa_exception_fp_ieee_inexact 0
		.amdhsa_exception_int_div_zero 0
	.end_amdhsa_kernel
	.section	.text._ZN4vllm17activation_kernelIN3c104HalfETnPFT_RKS3_EXadL_ZNS_16gelu_fast_kernelIS2_EES3_S5_EEEEvPS3_PS4_i,"axG",@progbits,_ZN4vllm17activation_kernelIN3c104HalfETnPFT_RKS3_EXadL_ZNS_16gelu_fast_kernelIS2_EES3_S5_EEEEvPS3_PS4_i,comdat
.Lfunc_end22:
	.size	_ZN4vllm17activation_kernelIN3c104HalfETnPFT_RKS3_EXadL_ZNS_16gelu_fast_kernelIS2_EES3_S5_EEEEvPS3_PS4_i, .Lfunc_end22-_ZN4vllm17activation_kernelIN3c104HalfETnPFT_RKS3_EXadL_ZNS_16gelu_fast_kernelIS2_EES3_S5_EEEEvPS3_PS4_i
                                        ; -- End function
	.set _ZN4vllm17activation_kernelIN3c104HalfETnPFT_RKS3_EXadL_ZNS_16gelu_fast_kernelIS2_EES3_S5_EEEEvPS3_PS4_i.num_vgpr, 12
	.set _ZN4vllm17activation_kernelIN3c104HalfETnPFT_RKS3_EXadL_ZNS_16gelu_fast_kernelIS2_EES3_S5_EEEEvPS3_PS4_i.num_agpr, 0
	.set _ZN4vllm17activation_kernelIN3c104HalfETnPFT_RKS3_EXadL_ZNS_16gelu_fast_kernelIS2_EES3_S5_EEEEvPS3_PS4_i.numbered_sgpr, 24
	.set _ZN4vllm17activation_kernelIN3c104HalfETnPFT_RKS3_EXadL_ZNS_16gelu_fast_kernelIS2_EES3_S5_EEEEvPS3_PS4_i.num_named_barrier, 0
	.set _ZN4vllm17activation_kernelIN3c104HalfETnPFT_RKS3_EXadL_ZNS_16gelu_fast_kernelIS2_EES3_S5_EEEEvPS3_PS4_i.private_seg_size, 0
	.set _ZN4vllm17activation_kernelIN3c104HalfETnPFT_RKS3_EXadL_ZNS_16gelu_fast_kernelIS2_EES3_S5_EEEEvPS3_PS4_i.uses_vcc, 1
	.set _ZN4vllm17activation_kernelIN3c104HalfETnPFT_RKS3_EXadL_ZNS_16gelu_fast_kernelIS2_EES3_S5_EEEEvPS3_PS4_i.uses_flat_scratch, 0
	.set _ZN4vllm17activation_kernelIN3c104HalfETnPFT_RKS3_EXadL_ZNS_16gelu_fast_kernelIS2_EES3_S5_EEEEvPS3_PS4_i.has_dyn_sized_stack, 0
	.set _ZN4vllm17activation_kernelIN3c104HalfETnPFT_RKS3_EXadL_ZNS_16gelu_fast_kernelIS2_EES3_S5_EEEEvPS3_PS4_i.has_recursion, 0
	.set _ZN4vllm17activation_kernelIN3c104HalfETnPFT_RKS3_EXadL_ZNS_16gelu_fast_kernelIS2_EES3_S5_EEEEvPS3_PS4_i.has_indirect_call, 0
	.section	.AMDGPU.csdata,"",@progbits
; Kernel info:
; codeLenInByte = 500
; TotalNumSgprs: 30
; NumVgprs: 12
; NumAgprs: 0
; TotalNumVgprs: 12
; ScratchSize: 0
; MemoryBound: 0
; FloatMode: 240
; IeeeMode: 1
; LDSByteSize: 0 bytes/workgroup (compile time only)
; SGPRBlocks: 3
; VGPRBlocks: 1
; NumSGPRsForWavesPerEU: 30
; NumVGPRsForWavesPerEU: 12
; AccumOffset: 12
; Occupancy: 8
; WaveLimiterHint : 0
; COMPUTE_PGM_RSRC2:SCRATCH_EN: 0
; COMPUTE_PGM_RSRC2:USER_SGPR: 2
; COMPUTE_PGM_RSRC2:TRAP_HANDLER: 0
; COMPUTE_PGM_RSRC2:TGID_X_EN: 1
; COMPUTE_PGM_RSRC2:TGID_Y_EN: 0
; COMPUTE_PGM_RSRC2:TGID_Z_EN: 0
; COMPUTE_PGM_RSRC2:TIDIG_COMP_CNT: 0
; COMPUTE_PGM_RSRC3_GFX90A:ACCUM_OFFSET: 2
; COMPUTE_PGM_RSRC3_GFX90A:TG_SPLIT: 0
	.section	.text._ZN4vllm17activation_kernelIN3c108BFloat16ETnPFT_RKS3_EXadL_ZNS_16gelu_fast_kernelIS2_EES3_S5_EEEEvPS3_PS4_i,"axG",@progbits,_ZN4vllm17activation_kernelIN3c108BFloat16ETnPFT_RKS3_EXadL_ZNS_16gelu_fast_kernelIS2_EES3_S5_EEEEvPS3_PS4_i,comdat
	.protected	_ZN4vllm17activation_kernelIN3c108BFloat16ETnPFT_RKS3_EXadL_ZNS_16gelu_fast_kernelIS2_EES3_S5_EEEEvPS3_PS4_i ; -- Begin function _ZN4vllm17activation_kernelIN3c108BFloat16ETnPFT_RKS3_EXadL_ZNS_16gelu_fast_kernelIS2_EES3_S5_EEEEvPS3_PS4_i
	.globl	_ZN4vllm17activation_kernelIN3c108BFloat16ETnPFT_RKS3_EXadL_ZNS_16gelu_fast_kernelIS2_EES3_S5_EEEEvPS3_PS4_i
	.p2align	8
	.type	_ZN4vllm17activation_kernelIN3c108BFloat16ETnPFT_RKS3_EXadL_ZNS_16gelu_fast_kernelIS2_EES3_S5_EEEEvPS3_PS4_i,@function
_ZN4vllm17activation_kernelIN3c108BFloat16ETnPFT_RKS3_EXadL_ZNS_16gelu_fast_kernelIS2_EES3_S5_EEEEvPS3_PS4_i: ; @_ZN4vllm17activation_kernelIN3c108BFloat16ETnPFT_RKS3_EXadL_ZNS_16gelu_fast_kernelIS2_EES3_S5_EEEEvPS3_PS4_i
; %bb.0:
	s_load_dword s8, s[0:1], 0x10
	s_waitcnt lgkmcnt(0)
	v_cmp_gt_i32_e32 vcc, s8, v0
	s_and_saveexec_b64 s[4:5], vcc
	s_cbranch_execz .LBB23_7
; %bb.1:
	s_load_dword s3, s[0:1], 0x24
	s_load_dwordx4 s[4:7], s[0:1], 0x0
	s_ashr_i32 s9, s8, 31
	v_mov_b32_e32 v1, 0
	v_mov_b32_e32 v2, s2
	s_waitcnt lgkmcnt(0)
	s_and_b32 s0, s3, 0xffff
	s_mul_i32 s10, s9, s2
	v_mad_u64_u32 v[2:3], s[2:3], s8, v2, v[0:1]
	s_mov_b32 s1, 0
	v_add_u32_e32 v3, s10, v3
                                        ; implicit-def: $vgpr6
                                        ; implicit-def: $vgpr6
                                        ; implicit-def: $vgpr6
	v_lshlrev_b64 v[2:3], 1, v[2:3]
	s_lshl_b32 s2, s0, 1
	s_mov_b32 s3, s1
	s_mov_b64 s[10:11], 0
	s_movk_i32 s14, 0x7fff
	v_mov_b32_e32 v4, 0x7fc00000
	s_mov_b32 s15, 0x3f200000
	s_mov_b32 s16, 0x3fb8aa3b
	;; [unrolled: 1-line block ×4, first 2 shown]
	v_mov_b32_e32 v5, 0x3ca908c9
	s_brev_b32 s19, -2
	v_mov_b32_e32 v6, 0x7fc0
	v_mov_b32_e32 v7, 1
	;; [unrolled: 1-line block ×3, first 2 shown]
	s_branch .LBB23_3
.LBB23_2:                               ;   in Loop: Header=BB23_3 Depth=1
	s_or_b64 exec, exec, s[12:13]
	v_bfi_b32 v10, s19, v11, v10
	v_bfe_u32 v11, v10, 16, 1
	v_add3_u32 v11, v10, v11, s14
	v_and_b32_e32 v11, 0xffff0000, v11
	v_add_f32_e32 v11, 1.0, v11
	v_cmp_o_f32_e32 vcc, v10, v10
	v_mul_f32_e32 v9, 0.5, v9
	v_and_b32_sdwa v12, v9, v7 dst_sel:DWORD dst_unused:UNUSED_PAD src0_sel:WORD_1 src1_sel:DWORD
	v_cndmask_b32_e32 v10, v4, v11, vcc
	v_and_b32_sdwa v11, v10, v7 dst_sel:DWORD dst_unused:UNUSED_PAD src0_sel:WORD_1 src1_sel:DWORD
	v_add3_u32 v11, v10, v11, s14
	v_add3_u32 v12, v9, v12, s14
	v_and_b32_e32 v11, 0xffff0000, v11
	v_cmp_o_f32_e32 vcc, v10, v10
	v_and_b32_e32 v12, 0xffff0000, v12
	v_lshl_add_u64 v[0:1], v[0:1], 0, s[0:1]
	v_cndmask_b32_e32 v10, v4, v11, vcc
	v_cmp_o_f32_e32 vcc, v9, v9
	s_nop 1
	v_cndmask_b32_e32 v9, v4, v12, vcc
	v_mul_f32_e32 v9, v9, v10
	v_bfe_u32 v10, v9, 16, 1
	v_add3_u32 v10, v9, v10, s14
	v_cmp_o_f32_e32 vcc, v9, v9
	s_nop 1
	v_cndmask_b32_sdwa v9, v6, v10, vcc dst_sel:DWORD dst_unused:UNUSED_PAD src0_sel:DWORD src1_sel:WORD_1
	v_cmp_le_i64_e32 vcc, s[8:9], v[0:1]
	v_lshl_add_u64 v[10:11], s[4:5], 0, v[2:3]
	s_or_b64 s[10:11], vcc, s[10:11]
	v_lshl_add_u64 v[2:3], v[2:3], 0, s[2:3]
	global_store_short v[10:11], v9, off
	s_andn2_b64 exec, exec, s[10:11]
	s_cbranch_execz .LBB23_7
.LBB23_3:                               ; =>This Inner Loop Header: Depth=1
	v_lshl_add_u64 v[10:11], s[6:7], 0, v[2:3]
	global_load_ushort v9, v[10:11], off
	s_waitcnt vmcnt(0)
	v_lshlrev_b32_e32 v9, 16, v9
	v_mul_f32_e32 v11, 0x3d372713, v9
	v_bfe_u32 v12, v11, 16, 1
	v_add3_u32 v12, v11, v12, s14
	v_and_b32_e32 v12, 0xffff0000, v12
	v_cmp_o_f32_e32 vcc, v11, v11
	v_mul_f32_e32 v10, 0x3f4c422a, v9
	v_and_b32_sdwa v13, v10, v7 dst_sel:DWORD dst_unused:UNUSED_PAD src0_sel:WORD_1 src1_sel:DWORD
	v_cndmask_b32_e32 v11, v4, v12, vcc
	v_mul_f32_e32 v11, v11, v9
	v_bfe_u32 v12, v11, 16, 1
	v_add3_u32 v13, v10, v13, s14
	v_add3_u32 v12, v11, v12, s14
	v_and_b32_e32 v13, 0xffff0000, v13
	v_cmp_o_f32_e32 vcc, v10, v10
	v_and_b32_e32 v12, 0xffff0000, v12
	v_add_f32_e32 v12, 1.0, v12
	v_cndmask_b32_e32 v10, v4, v13, vcc
	v_cmp_o_f32_e32 vcc, v11, v11
	s_nop 1
	v_cndmask_b32_e32 v11, v4, v12, vcc
	v_and_b32_sdwa v12, v11, v7 dst_sel:DWORD dst_unused:UNUSED_PAD src0_sel:WORD_1 src1_sel:DWORD
	v_add3_u32 v12, v11, v12, s14
	v_and_b32_e32 v12, 0xffff0000, v12
	v_cmp_o_f32_e32 vcc, v11, v11
	s_nop 1
	v_cndmask_b32_e32 v11, v4, v12, vcc
	v_mul_f32_e32 v10, v10, v11
	v_bfe_u32 v11, v10, 16, 1
	v_add3_u32 v11, v10, v11, s14
	v_and_b32_e32 v11, 0xffff0000, v11
	v_cmp_o_f32_e32 vcc, v10, v10
	s_nop 1
	v_cndmask_b32_e32 v10, v4, v11, vcc
	v_cmp_nlt_f32_e64 s[12:13], |v10|, s15
                                        ; implicit-def: $vgpr11
	s_and_saveexec_b64 s[20:21], s[12:13]
	s_xor_b64 s[12:13], exec, s[20:21]
	s_cbranch_execz .LBB23_5
; %bb.4:                                ;   in Loop: Header=BB23_3 Depth=1
	v_add_f32_e64 v11, |v10|, |v10|
	v_mul_f32_e32 v12, 0x3fb8aa3b, v11
	v_rndne_f32_e32 v13, v12
	v_sub_f32_e32 v14, v12, v13
	v_fma_f32 v12, v11, s16, -v12
	v_fmac_f32_e32 v12, 0x32a5705f, v11
	v_add_f32_e32 v12, v14, v12
	v_cvt_i32_f32_e32 v13, v13
	v_exp_f32_e32 v12, v12
	v_cmp_ngt_f32_e32 vcc, s17, v11
	v_ldexp_f32 v12, v12, v13
	s_nop 0
	v_cndmask_b32_e32 v12, 0, v12, vcc
	v_cmp_nlt_f32_e32 vcc, s18, v11
	s_nop 1
	v_cndmask_b32_e32 v11, v8, v12, vcc
	v_add_f32_e32 v11, 1.0, v11
	v_rcp_f32_e32 v11, v11
	s_nop 0
	v_fma_f32 v11, v11, -2.0, 1.0
.LBB23_5:                               ;   in Loop: Header=BB23_3 Depth=1
	s_andn2_saveexec_b64 s[12:13], s[12:13]
	s_cbranch_execz .LBB23_2
; %bb.6:                                ;   in Loop: Header=BB23_3 Depth=1
	v_mul_f32_e32 v11, v10, v10
	v_fmamk_f32 v12, v11, 0xbbbac73d, v5
	v_fmaak_f32 v12, v11, v12, 0xbd5c1c4e
	v_fmaak_f32 v12, v11, v12, 0x3e088382
	;; [unrolled: 1-line block ×3, first 2 shown]
	v_mul_f32_e64 v12, |v10|, v12
	v_fma_f32 v11, v11, v12, |v10|
	s_branch .LBB23_2
.LBB23_7:
	s_endpgm
	.section	.rodata,"a",@progbits
	.p2align	6, 0x0
	.amdhsa_kernel _ZN4vllm17activation_kernelIN3c108BFloat16ETnPFT_RKS3_EXadL_ZNS_16gelu_fast_kernelIS2_EES3_S5_EEEEvPS3_PS4_i
		.amdhsa_group_segment_fixed_size 0
		.amdhsa_private_segment_fixed_size 0
		.amdhsa_kernarg_size 280
		.amdhsa_user_sgpr_count 2
		.amdhsa_user_sgpr_dispatch_ptr 0
		.amdhsa_user_sgpr_queue_ptr 0
		.amdhsa_user_sgpr_kernarg_segment_ptr 1
		.amdhsa_user_sgpr_dispatch_id 0
		.amdhsa_user_sgpr_kernarg_preload_length 0
		.amdhsa_user_sgpr_kernarg_preload_offset 0
		.amdhsa_user_sgpr_private_segment_size 0
		.amdhsa_uses_dynamic_stack 0
		.amdhsa_enable_private_segment 0
		.amdhsa_system_sgpr_workgroup_id_x 1
		.amdhsa_system_sgpr_workgroup_id_y 0
		.amdhsa_system_sgpr_workgroup_id_z 0
		.amdhsa_system_sgpr_workgroup_info 0
		.amdhsa_system_vgpr_workitem_id 0
		.amdhsa_next_free_vgpr 15
		.amdhsa_next_free_sgpr 22
		.amdhsa_accum_offset 16
		.amdhsa_reserve_vcc 1
		.amdhsa_float_round_mode_32 0
		.amdhsa_float_round_mode_16_64 0
		.amdhsa_float_denorm_mode_32 3
		.amdhsa_float_denorm_mode_16_64 3
		.amdhsa_dx10_clamp 1
		.amdhsa_ieee_mode 1
		.amdhsa_fp16_overflow 0
		.amdhsa_tg_split 0
		.amdhsa_exception_fp_ieee_invalid_op 0
		.amdhsa_exception_fp_denorm_src 0
		.amdhsa_exception_fp_ieee_div_zero 0
		.amdhsa_exception_fp_ieee_overflow 0
		.amdhsa_exception_fp_ieee_underflow 0
		.amdhsa_exception_fp_ieee_inexact 0
		.amdhsa_exception_int_div_zero 0
	.end_amdhsa_kernel
	.section	.text._ZN4vllm17activation_kernelIN3c108BFloat16ETnPFT_RKS3_EXadL_ZNS_16gelu_fast_kernelIS2_EES3_S5_EEEEvPS3_PS4_i,"axG",@progbits,_ZN4vllm17activation_kernelIN3c108BFloat16ETnPFT_RKS3_EXadL_ZNS_16gelu_fast_kernelIS2_EES3_S5_EEEEvPS3_PS4_i,comdat
.Lfunc_end23:
	.size	_ZN4vllm17activation_kernelIN3c108BFloat16ETnPFT_RKS3_EXadL_ZNS_16gelu_fast_kernelIS2_EES3_S5_EEEEvPS3_PS4_i, .Lfunc_end23-_ZN4vllm17activation_kernelIN3c108BFloat16ETnPFT_RKS3_EXadL_ZNS_16gelu_fast_kernelIS2_EES3_S5_EEEEvPS3_PS4_i
                                        ; -- End function
	.set _ZN4vllm17activation_kernelIN3c108BFloat16ETnPFT_RKS3_EXadL_ZNS_16gelu_fast_kernelIS2_EES3_S5_EEEEvPS3_PS4_i.num_vgpr, 15
	.set _ZN4vllm17activation_kernelIN3c108BFloat16ETnPFT_RKS3_EXadL_ZNS_16gelu_fast_kernelIS2_EES3_S5_EEEEvPS3_PS4_i.num_agpr, 0
	.set _ZN4vllm17activation_kernelIN3c108BFloat16ETnPFT_RKS3_EXadL_ZNS_16gelu_fast_kernelIS2_EES3_S5_EEEEvPS3_PS4_i.numbered_sgpr, 22
	.set _ZN4vllm17activation_kernelIN3c108BFloat16ETnPFT_RKS3_EXadL_ZNS_16gelu_fast_kernelIS2_EES3_S5_EEEEvPS3_PS4_i.num_named_barrier, 0
	.set _ZN4vllm17activation_kernelIN3c108BFloat16ETnPFT_RKS3_EXadL_ZNS_16gelu_fast_kernelIS2_EES3_S5_EEEEvPS3_PS4_i.private_seg_size, 0
	.set _ZN4vllm17activation_kernelIN3c108BFloat16ETnPFT_RKS3_EXadL_ZNS_16gelu_fast_kernelIS2_EES3_S5_EEEEvPS3_PS4_i.uses_vcc, 1
	.set _ZN4vllm17activation_kernelIN3c108BFloat16ETnPFT_RKS3_EXadL_ZNS_16gelu_fast_kernelIS2_EES3_S5_EEEEvPS3_PS4_i.uses_flat_scratch, 0
	.set _ZN4vllm17activation_kernelIN3c108BFloat16ETnPFT_RKS3_EXadL_ZNS_16gelu_fast_kernelIS2_EES3_S5_EEEEvPS3_PS4_i.has_dyn_sized_stack, 0
	.set _ZN4vllm17activation_kernelIN3c108BFloat16ETnPFT_RKS3_EXadL_ZNS_16gelu_fast_kernelIS2_EES3_S5_EEEEvPS3_PS4_i.has_recursion, 0
	.set _ZN4vllm17activation_kernelIN3c108BFloat16ETnPFT_RKS3_EXadL_ZNS_16gelu_fast_kernelIS2_EES3_S5_EEEEvPS3_PS4_i.has_indirect_call, 0
	.section	.AMDGPU.csdata,"",@progbits
; Kernel info:
; codeLenInByte = 804
; TotalNumSgprs: 28
; NumVgprs: 15
; NumAgprs: 0
; TotalNumVgprs: 15
; ScratchSize: 0
; MemoryBound: 0
; FloatMode: 240
; IeeeMode: 1
; LDSByteSize: 0 bytes/workgroup (compile time only)
; SGPRBlocks: 3
; VGPRBlocks: 1
; NumSGPRsForWavesPerEU: 28
; NumVGPRsForWavesPerEU: 15
; AccumOffset: 16
; Occupancy: 8
; WaveLimiterHint : 0
; COMPUTE_PGM_RSRC2:SCRATCH_EN: 0
; COMPUTE_PGM_RSRC2:USER_SGPR: 2
; COMPUTE_PGM_RSRC2:TRAP_HANDLER: 0
; COMPUTE_PGM_RSRC2:TGID_X_EN: 1
; COMPUTE_PGM_RSRC2:TGID_Y_EN: 0
; COMPUTE_PGM_RSRC2:TGID_Z_EN: 0
; COMPUTE_PGM_RSRC2:TIDIG_COMP_CNT: 0
; COMPUTE_PGM_RSRC3_GFX90A:ACCUM_OFFSET: 3
; COMPUTE_PGM_RSRC3_GFX90A:TG_SPLIT: 0
	.section	.text._ZN4vllm17activation_kernelIfTnPFT_RKS1_EXadL_ZNS_17gelu_quick_kernelIfEES1_S3_EEEEvPS1_PS2_i,"axG",@progbits,_ZN4vllm17activation_kernelIfTnPFT_RKS1_EXadL_ZNS_17gelu_quick_kernelIfEES1_S3_EEEEvPS1_PS2_i,comdat
	.protected	_ZN4vllm17activation_kernelIfTnPFT_RKS1_EXadL_ZNS_17gelu_quick_kernelIfEES1_S3_EEEEvPS1_PS2_i ; -- Begin function _ZN4vllm17activation_kernelIfTnPFT_RKS1_EXadL_ZNS_17gelu_quick_kernelIfEES1_S3_EEEEvPS1_PS2_i
	.globl	_ZN4vllm17activation_kernelIfTnPFT_RKS1_EXadL_ZNS_17gelu_quick_kernelIfEES1_S3_EEEEvPS1_PS2_i
	.p2align	8
	.type	_ZN4vllm17activation_kernelIfTnPFT_RKS1_EXadL_ZNS_17gelu_quick_kernelIfEES1_S3_EEEEvPS1_PS2_i,@function
_ZN4vllm17activation_kernelIfTnPFT_RKS1_EXadL_ZNS_17gelu_quick_kernelIfEES1_S3_EEEEvPS1_PS2_i: ; @_ZN4vllm17activation_kernelIfTnPFT_RKS1_EXadL_ZNS_17gelu_quick_kernelIfEES1_S3_EEEEvPS1_PS2_i
; %bb.0:
	s_load_dword s8, s[0:1], 0x10
	s_waitcnt lgkmcnt(0)
	v_cmp_gt_i32_e32 vcc, s8, v0
	s_and_saveexec_b64 s[4:5], vcc
	s_cbranch_execz .LBB24_8
; %bb.1:
	v_mov_b32_e32 v1, 0
	s_load_dwordx4 s[4:7], s[0:1], 0x0
	s_load_dword s3, s[0:1], 0x24
	s_ashr_i32 s9, s8, 31
	v_add_u32_e32 v2, 1, v0
	v_mov_b32_e32 v3, v1
	v_mov_b32_e32 v4, s9
	v_cmp_lt_i64_e32 vcc, s[8:9], v[2:3]
	s_mul_hi_u32 s0, s8, s2
	s_mul_i32 s1, s9, s2
	v_cndmask_b32_e64 v3, v4, 0, vcc
	v_mov_b32_e32 v4, s8
	v_cndmask_b32_e32 v2, v4, v2, vcc
	s_add_i32 s11, s0, s1
	s_mul_i32 s10, s8, s2
	s_waitcnt lgkmcnt(0)
	s_and_b32 s2, s3, 0xffff
	v_sub_co_u32_e32 v2, vcc, v2, v0
	s_cmp_eq_u32 s2, 1
	s_nop 0
	v_subbrev_co_u32_e32 v3, vcc, 0, v3, vcc
	v_cmp_lt_u64_e32 vcc, 1, v[2:3]
	s_cselect_b64 s[0:1], -1, 0
	s_and_b64 s[14:15], vcc, s[0:1]
	s_mov_b64 s[0:1], -1
	s_and_saveexec_b64 s[12:13], s[14:15]
	s_cbranch_execz .LBB24_5
; %bb.2:
	v_lshl_add_u64 v[6:7], v[0:1], 0, s[10:11]
	v_and_b32_e32 v4, -2, v2
	v_mov_b32_e32 v5, v3
	v_lshlrev_b64 v[8:9], 2, v[6:7]
	v_lshl_add_u64 v[6:7], s[6:7], 0, v[8:9]
	v_lshl_add_u64 v[8:9], s[4:5], 0, v[8:9]
	s_mov_b64 s[14:15], 0
	s_mov_b32 s16, 0xbfd9db23
	s_mov_b32 s3, 0x3fb8aa3b
	;; [unrolled: 1-line block ×4, first 2 shown]
	v_mov_b32_e32 v12, 0x7f800000
	v_mov_b64_e32 v[10:11], v[4:5]
.LBB24_3:                               ; =>This Inner Loop Header: Depth=1
	global_load_dwordx2 v[14:15], v[6:7], off
	v_lshl_add_u64 v[10:11], v[10:11], 0, -2
	v_cmp_eq_u64_e32 vcc, 0, v[10:11]
	s_or_b64 s[14:15], vcc, s[14:15]
	v_lshl_add_u64 v[6:7], v[6:7], 0, 8
	s_waitcnt vmcnt(0)
	v_pk_mul_f32 v[16:17], v[14:15], s[16:17] op_sel_hi:[1,0]
	s_nop 0
	v_mul_f32_e32 v13, 0x3fb8aa3b, v17
	v_mul_f32_e32 v18, 0x3fb8aa3b, v16
	v_fma_f32 v19, v17, s3, -v13
	v_rndne_f32_e32 v20, v13
	v_fma_f32 v21, v16, s3, -v18
	v_rndne_f32_e32 v22, v18
	v_fmac_f32_e32 v19, 0x32a5705f, v17
	v_sub_f32_e32 v13, v13, v20
	v_fmac_f32_e32 v21, 0x32a5705f, v16
	v_sub_f32_e32 v18, v18, v22
	v_add_f32_e32 v13, v13, v19
	v_add_f32_e32 v18, v18, v21
	v_cvt_i32_f32_e32 v20, v20
	v_cvt_i32_f32_e32 v22, v22
	v_exp_f32_e32 v13, v13
	v_exp_f32_e32 v18, v18
	v_cmp_ngt_f32_e32 vcc, s17, v16
	v_cmp_ngt_f32_e64 s[0:1], s17, v17
	v_ldexp_f32 v13, v13, v20
	v_ldexp_f32 v18, v18, v22
	v_cndmask_b32_e64 v13, 0, v13, s[0:1]
	v_cndmask_b32_e32 v18, 0, v18, vcc
	v_cmp_nlt_f32_e32 vcc, s18, v16
	v_cmp_nlt_f32_e64 s[0:1], s18, v17
	s_nop 0
	v_cndmask_b32_e32 v16, v12, v18, vcc
	v_cndmask_b32_e64 v17, v12, v13, s[0:1]
	v_pk_add_f32 v[16:17], v[16:17], 1.0 op_sel_hi:[1,0]
	s_nop 0
	v_div_scale_f32 v13, s[0:1], v17, v17, v15
	v_div_scale_f32 v19, s[0:1], v16, v16, v14
	v_rcp_f32_e32 v21, v13
	v_rcp_f32_e32 v22, v19
	v_div_scale_f32 v18, vcc, v15, v17, v15
	v_fma_f32 v23, -v13, v21, 1.0
	v_fma_f32 v24, -v19, v22, 1.0
	v_fmac_f32_e32 v21, v23, v21
	v_div_scale_f32 v20, s[0:1], v14, v16, v14
	v_fmac_f32_e32 v22, v24, v22
	v_mul_f32_e32 v23, v18, v21
	v_mul_f32_e32 v24, v20, v22
	v_fma_f32 v25, -v13, v23, v18
	v_fma_f32 v26, -v19, v24, v20
	v_fmac_f32_e32 v23, v25, v21
	v_fmac_f32_e32 v24, v26, v22
	v_fma_f32 v13, -v13, v23, v18
	v_fma_f32 v18, -v19, v24, v20
	v_div_fmas_f32 v13, v13, v21, v23
	s_mov_b64 vcc, s[0:1]
	v_div_fixup_f32 v15, v13, v17, v15
	v_div_fmas_f32 v13, v18, v22, v24
	v_div_fixup_f32 v14, v13, v16, v14
	global_store_dwordx2 v[8:9], v[14:15], off
	v_lshl_add_u64 v[8:9], v[8:9], 0, 8
	s_andn2_b64 exec, exec, s[14:15]
	s_cbranch_execnz .LBB24_3
; %bb.4:
	s_or_b64 exec, exec, s[14:15]
	v_cmp_ne_u64_e32 vcc, v[2:3], v[4:5]
	v_lshl_add_u64 v[0:1], v[4:5], 0, v[0:1]
	s_orn2_b64 s[0:1], vcc, exec
.LBB24_5:
	s_or_b64 exec, exec, s[12:13]
	s_and_b64 exec, exec, s[0:1]
	s_cbranch_execz .LBB24_8
; %bb.6:
	s_mov_b32 s3, 0
	v_lshl_add_u64 v[2:3], v[0:1], 0, s[10:11]
	v_lshlrev_b64 v[2:3], 2, v[2:3]
	s_lshl_b32 s0, s2, 2
	s_mov_b32 s1, s3
	s_mov_b64 s[10:11], 0
	s_mov_b32 s12, 0x3fb8aa3b
	s_mov_b32 s13, 0xc2ce8ed0
	s_mov_b32 s14, 0x42b17218
	v_mov_b32_e32 v4, 0x7f800000
.LBB24_7:                               ; =>This Inner Loop Header: Depth=1
	v_lshl_add_u64 v[6:7], s[6:7], 0, v[2:3]
	global_load_dword v5, v[6:7], off
	v_lshl_add_u64 v[0:1], v[0:1], 0, s[2:3]
	v_cmp_le_i64_e32 vcc, s[8:9], v[0:1]
	s_or_b64 s[10:11], vcc, s[10:11]
	v_lshl_add_u64 v[6:7], s[4:5], 0, v[2:3]
	v_lshl_add_u64 v[2:3], v[2:3], 0, s[0:1]
	s_waitcnt vmcnt(0)
	v_mul_f32_e32 v8, 0xbfd9db23, v5
	v_mul_f32_e32 v9, 0x3fb8aa3b, v8
	v_fma_f32 v10, v8, s12, -v9
	v_rndne_f32_e32 v11, v9
	v_fmac_f32_e32 v10, 0x32a5705f, v8
	v_sub_f32_e32 v9, v9, v11
	v_add_f32_e32 v9, v9, v10
	v_cvt_i32_f32_e32 v11, v11
	v_exp_f32_e32 v9, v9
	v_cmp_ngt_f32_e32 vcc, s13, v8
	v_ldexp_f32 v9, v9, v11
	s_nop 0
	v_cndmask_b32_e32 v9, 0, v9, vcc
	v_cmp_nlt_f32_e32 vcc, s14, v8
	s_nop 1
	v_cndmask_b32_e32 v8, v4, v9, vcc
	v_add_f32_e32 v8, 1.0, v8
	v_div_scale_f32 v9, s[16:17], v8, v8, v5
	v_rcp_f32_e32 v10, v9
	v_div_scale_f32 v11, vcc, v5, v8, v5
	v_fma_f32 v12, -v9, v10, 1.0
	v_fmac_f32_e32 v10, v12, v10
	v_mul_f32_e32 v12, v11, v10
	v_fma_f32 v13, -v9, v12, v11
	v_fmac_f32_e32 v12, v13, v10
	v_fma_f32 v9, -v9, v12, v11
	v_div_fmas_f32 v9, v9, v10, v12
	v_div_fixup_f32 v5, v9, v8, v5
	global_store_dword v[6:7], v5, off
	s_andn2_b64 exec, exec, s[10:11]
	s_cbranch_execnz .LBB24_7
.LBB24_8:
	s_endpgm
	.section	.rodata,"a",@progbits
	.p2align	6, 0x0
	.amdhsa_kernel _ZN4vllm17activation_kernelIfTnPFT_RKS1_EXadL_ZNS_17gelu_quick_kernelIfEES1_S3_EEEEvPS1_PS2_i
		.amdhsa_group_segment_fixed_size 0
		.amdhsa_private_segment_fixed_size 0
		.amdhsa_kernarg_size 280
		.amdhsa_user_sgpr_count 2
		.amdhsa_user_sgpr_dispatch_ptr 0
		.amdhsa_user_sgpr_queue_ptr 0
		.amdhsa_user_sgpr_kernarg_segment_ptr 1
		.amdhsa_user_sgpr_dispatch_id 0
		.amdhsa_user_sgpr_kernarg_preload_length 0
		.amdhsa_user_sgpr_kernarg_preload_offset 0
		.amdhsa_user_sgpr_private_segment_size 0
		.amdhsa_uses_dynamic_stack 0
		.amdhsa_enable_private_segment 0
		.amdhsa_system_sgpr_workgroup_id_x 1
		.amdhsa_system_sgpr_workgroup_id_y 0
		.amdhsa_system_sgpr_workgroup_id_z 0
		.amdhsa_system_sgpr_workgroup_info 0
		.amdhsa_system_vgpr_workitem_id 0
		.amdhsa_next_free_vgpr 27
		.amdhsa_next_free_sgpr 19
		.amdhsa_accum_offset 28
		.amdhsa_reserve_vcc 1
		.amdhsa_float_round_mode_32 0
		.amdhsa_float_round_mode_16_64 0
		.amdhsa_float_denorm_mode_32 3
		.amdhsa_float_denorm_mode_16_64 3
		.amdhsa_dx10_clamp 1
		.amdhsa_ieee_mode 1
		.amdhsa_fp16_overflow 0
		.amdhsa_tg_split 0
		.amdhsa_exception_fp_ieee_invalid_op 0
		.amdhsa_exception_fp_denorm_src 0
		.amdhsa_exception_fp_ieee_div_zero 0
		.amdhsa_exception_fp_ieee_overflow 0
		.amdhsa_exception_fp_ieee_underflow 0
		.amdhsa_exception_fp_ieee_inexact 0
		.amdhsa_exception_int_div_zero 0
	.end_amdhsa_kernel
	.section	.text._ZN4vllm17activation_kernelIfTnPFT_RKS1_EXadL_ZNS_17gelu_quick_kernelIfEES1_S3_EEEEvPS1_PS2_i,"axG",@progbits,_ZN4vllm17activation_kernelIfTnPFT_RKS1_EXadL_ZNS_17gelu_quick_kernelIfEES1_S3_EEEEvPS1_PS2_i,comdat
.Lfunc_end24:
	.size	_ZN4vllm17activation_kernelIfTnPFT_RKS1_EXadL_ZNS_17gelu_quick_kernelIfEES1_S3_EEEEvPS1_PS2_i, .Lfunc_end24-_ZN4vllm17activation_kernelIfTnPFT_RKS1_EXadL_ZNS_17gelu_quick_kernelIfEES1_S3_EEEEvPS1_PS2_i
                                        ; -- End function
	.set _ZN4vllm17activation_kernelIfTnPFT_RKS1_EXadL_ZNS_17gelu_quick_kernelIfEES1_S3_EEEEvPS1_PS2_i.num_vgpr, 27
	.set _ZN4vllm17activation_kernelIfTnPFT_RKS1_EXadL_ZNS_17gelu_quick_kernelIfEES1_S3_EEEEvPS1_PS2_i.num_agpr, 0
	.set _ZN4vllm17activation_kernelIfTnPFT_RKS1_EXadL_ZNS_17gelu_quick_kernelIfEES1_S3_EEEEvPS1_PS2_i.numbered_sgpr, 19
	.set _ZN4vllm17activation_kernelIfTnPFT_RKS1_EXadL_ZNS_17gelu_quick_kernelIfEES1_S3_EEEEvPS1_PS2_i.num_named_barrier, 0
	.set _ZN4vllm17activation_kernelIfTnPFT_RKS1_EXadL_ZNS_17gelu_quick_kernelIfEES1_S3_EEEEvPS1_PS2_i.private_seg_size, 0
	.set _ZN4vllm17activation_kernelIfTnPFT_RKS1_EXadL_ZNS_17gelu_quick_kernelIfEES1_S3_EEEEvPS1_PS2_i.uses_vcc, 1
	.set _ZN4vllm17activation_kernelIfTnPFT_RKS1_EXadL_ZNS_17gelu_quick_kernelIfEES1_S3_EEEEvPS1_PS2_i.uses_flat_scratch, 0
	.set _ZN4vllm17activation_kernelIfTnPFT_RKS1_EXadL_ZNS_17gelu_quick_kernelIfEES1_S3_EEEEvPS1_PS2_i.has_dyn_sized_stack, 0
	.set _ZN4vllm17activation_kernelIfTnPFT_RKS1_EXadL_ZNS_17gelu_quick_kernelIfEES1_S3_EEEEvPS1_PS2_i.has_recursion, 0
	.set _ZN4vllm17activation_kernelIfTnPFT_RKS1_EXadL_ZNS_17gelu_quick_kernelIfEES1_S3_EEEEvPS1_PS2_i.has_indirect_call, 0
	.section	.AMDGPU.csdata,"",@progbits
; Kernel info:
; codeLenInByte = 952
; TotalNumSgprs: 25
; NumVgprs: 27
; NumAgprs: 0
; TotalNumVgprs: 27
; ScratchSize: 0
; MemoryBound: 0
; FloatMode: 240
; IeeeMode: 1
; LDSByteSize: 0 bytes/workgroup (compile time only)
; SGPRBlocks: 3
; VGPRBlocks: 3
; NumSGPRsForWavesPerEU: 25
; NumVGPRsForWavesPerEU: 27
; AccumOffset: 28
; Occupancy: 8
; WaveLimiterHint : 0
; COMPUTE_PGM_RSRC2:SCRATCH_EN: 0
; COMPUTE_PGM_RSRC2:USER_SGPR: 2
; COMPUTE_PGM_RSRC2:TRAP_HANDLER: 0
; COMPUTE_PGM_RSRC2:TGID_X_EN: 1
; COMPUTE_PGM_RSRC2:TGID_Y_EN: 0
; COMPUTE_PGM_RSRC2:TGID_Z_EN: 0
; COMPUTE_PGM_RSRC2:TIDIG_COMP_CNT: 0
; COMPUTE_PGM_RSRC3_GFX90A:ACCUM_OFFSET: 6
; COMPUTE_PGM_RSRC3_GFX90A:TG_SPLIT: 0
	.section	.text._ZN4vllm17activation_kernelIN3c104HalfETnPFT_RKS3_EXadL_ZNS_17gelu_quick_kernelIS2_EES3_S5_EEEEvPS3_PS4_i,"axG",@progbits,_ZN4vllm17activation_kernelIN3c104HalfETnPFT_RKS3_EXadL_ZNS_17gelu_quick_kernelIS2_EES3_S5_EEEEvPS3_PS4_i,comdat
	.protected	_ZN4vllm17activation_kernelIN3c104HalfETnPFT_RKS3_EXadL_ZNS_17gelu_quick_kernelIS2_EES3_S5_EEEEvPS3_PS4_i ; -- Begin function _ZN4vllm17activation_kernelIN3c104HalfETnPFT_RKS3_EXadL_ZNS_17gelu_quick_kernelIS2_EES3_S5_EEEEvPS3_PS4_i
	.globl	_ZN4vllm17activation_kernelIN3c104HalfETnPFT_RKS3_EXadL_ZNS_17gelu_quick_kernelIS2_EES3_S5_EEEEvPS3_PS4_i
	.p2align	8
	.type	_ZN4vllm17activation_kernelIN3c104HalfETnPFT_RKS3_EXadL_ZNS_17gelu_quick_kernelIS2_EES3_S5_EEEEvPS3_PS4_i,@function
_ZN4vllm17activation_kernelIN3c104HalfETnPFT_RKS3_EXadL_ZNS_17gelu_quick_kernelIS2_EES3_S5_EEEEvPS3_PS4_i: ; @_ZN4vllm17activation_kernelIN3c104HalfETnPFT_RKS3_EXadL_ZNS_17gelu_quick_kernelIS2_EES3_S5_EEEEvPS3_PS4_i
; %bb.0:
	s_load_dword s6, s[0:1], 0x10
	s_waitcnt lgkmcnt(0)
	v_cmp_gt_i32_e32 vcc, s6, v0
	s_and_saveexec_b64 s[4:5], vcc
	s_cbranch_execz .LBB25_8
; %bb.1:
	v_mov_b32_e32 v1, 0
	s_load_dwordx4 s[8:11], s[0:1], 0x0
	s_load_dword s3, s[0:1], 0x24
	s_ashr_i32 s7, s6, 31
	v_add_u32_e32 v2, 1, v0
	v_mov_b32_e32 v3, v1
	v_mov_b32_e32 v4, s7
	v_cmp_lt_i64_e32 vcc, s[6:7], v[2:3]
	s_mul_hi_u32 s0, s6, s2
	s_mul_i32 s1, s7, s2
	v_cndmask_b32_e64 v3, v4, 0, vcc
	v_mov_b32_e32 v4, s6
	v_cndmask_b32_e32 v2, v4, v2, vcc
	s_add_i32 s15, s0, s1
	s_waitcnt lgkmcnt(0)
	s_and_b32 s12, s3, 0xffff
	v_sub_co_u32_e32 v2, vcc, v2, v0
	s_cmp_eq_u32 s12, 1
	s_nop 0
	v_subbrev_co_u32_e32 v3, vcc, 0, v3, vcc
	v_cmp_lt_u64_e32 vcc, 3, v[2:3]
	s_cselect_b64 s[0:1], -1, 0
	s_mul_i32 s14, s6, s2
	s_and_b64 s[2:3], vcc, s[0:1]
	s_mov_b64 s[0:1], -1
	s_and_saveexec_b64 s[16:17], s[2:3]
	s_cbranch_execz .LBB25_5
; %bb.2:
	v_lshl_add_u64 v[6:7], v[0:1], 0, s[14:15]
	v_and_b32_e32 v4, -4, v2
	v_mov_b32_e32 v5, v3
	v_lshlrev_b64 v[8:9], 1, v[6:7]
	v_lshl_add_u64 v[6:7], s[10:11], 0, v[8:9]
	v_lshl_add_u64 v[8:9], s[8:9], 0, v[8:9]
	s_mov_b64 s[18:19], 0
	s_mov_b32 s20, 0xbfd9db23
	s_mov_b32 s13, 0x3fb8aa3b
	;; [unrolled: 1-line block ×4, first 2 shown]
	v_mov_b32_e32 v14, 0x7f800000
	v_mov_b64_e32 v[10:11], v[4:5]
.LBB25_3:                               ; =>This Inner Loop Header: Depth=1
	global_load_dwordx2 v[12:13], v[6:7], off
	v_lshl_add_u64 v[10:11], v[10:11], 0, -4
	v_cmp_eq_u64_e32 vcc, 0, v[10:11]
	s_or_b64 s[18:19], vcc, s[18:19]
	v_lshl_add_u64 v[6:7], v[6:7], 0, 8
	s_waitcnt vmcnt(0)
	v_cvt_f32_f16_sdwa v17, v12 dst_sel:DWORD dst_unused:UNUSED_PAD src0_sel:WORD_1
	v_cvt_f32_f16_e32 v16, v12
	v_cvt_f32_f16_sdwa v19, v13 dst_sel:DWORD dst_unused:UNUSED_PAD src0_sel:WORD_1
	v_cvt_f32_f16_e32 v18, v13
	v_pk_mul_f32 v[20:21], v[16:17], s[20:21] op_sel_hi:[1,0]
	s_nop 0
	v_mul_f32_e32 v15, 0x3fb8aa3b, v21
	v_pk_mul_f32 v[12:13], v[18:19], s[20:21] op_sel_hi:[1,0]
	v_mul_f32_e32 v22, 0x3fb8aa3b, v20
	v_mul_f32_e32 v23, 0x3fb8aa3b, v13
	;; [unrolled: 1-line block ×3, first 2 shown]
	v_fma_f32 v25, v21, s13, -v15
	v_rndne_f32_e32 v26, v15
	v_fma_f32 v27, v20, s13, -v22
	v_rndne_f32_e32 v28, v22
	;; [unrolled: 2-line block ×4, first 2 shown]
	v_fmac_f32_e32 v25, 0x32a5705f, v21
	v_sub_f32_e32 v15, v15, v26
	v_fmac_f32_e32 v27, 0x32a5705f, v20
	v_sub_f32_e32 v22, v22, v28
	;; [unrolled: 2-line block ×4, first 2 shown]
	v_add_f32_e32 v15, v15, v25
	v_add_f32_e32 v22, v22, v27
	v_cvt_i32_f32_e32 v26, v26
	v_cvt_i32_f32_e32 v28, v28
	v_add_f32_e32 v23, v23, v29
	v_add_f32_e32 v24, v24, v31
	v_exp_f32_e32 v15, v15
	v_exp_f32_e32 v22, v22
	v_cvt_i32_f32_e32 v30, v30
	v_cvt_i32_f32_e32 v32, v32
	v_exp_f32_e32 v23, v23
	v_exp_f32_e32 v24, v24
	v_ldexp_f32 v15, v15, v26
	v_ldexp_f32 v22, v22, v28
	v_cmp_ngt_f32_e32 vcc, s21, v20
	v_cmp_ngt_f32_e64 s[4:5], s21, v21
	v_ldexp_f32 v23, v23, v30
	v_cmp_ngt_f32_e64 s[0:1], s21, v13
	v_ldexp_f32 v24, v24, v32
	v_cmp_ngt_f32_e64 s[2:3], s21, v12
	v_cndmask_b32_e64 v15, 0, v15, s[4:5]
	v_cndmask_b32_e32 v22, 0, v22, vcc
	v_cmp_nlt_f32_e32 vcc, s22, v20
	v_cmp_nlt_f32_e64 s[4:5], s22, v21
	v_cndmask_b32_e64 v20, 0, v23, s[0:1]
	v_cmp_nlt_f32_e64 s[0:1], s22, v13
	v_cndmask_b32_e64 v23, 0, v24, s[2:3]
	;; [unrolled: 2-line block ×3, first 2 shown]
	v_cndmask_b32_e32 v12, v14, v22, vcc
	v_pk_add_f32 v[12:13], v[12:13], 1.0 op_sel_hi:[1,0]
	v_cndmask_b32_e64 v21, v14, v20, s[0:1]
	v_cndmask_b32_e64 v20, v14, v23, s[2:3]
	v_div_scale_f32 v15, s[0:1], v13, v13, v17
	v_pk_add_f32 v[20:21], v[20:21], 1.0 op_sel_hi:[1,0]
	v_div_scale_f32 v23, s[0:1], v12, v12, v16
	v_rcp_f32_e32 v29, v15
	v_div_scale_f32 v25, s[2:3], v21, v21, v19
	v_rcp_f32_e32 v30, v23
	;; [unrolled: 2-line block ×3, first 2 shown]
	v_rcp_f32_e32 v32, v27
	v_fma_f32 v33, -v15, v29, 1.0
	v_div_scale_f32 v22, vcc, v17, v13, v17
	v_fma_f32 v34, -v23, v30, 1.0
	v_fmac_f32_e32 v29, v33, v29
	v_div_scale_f32 v24, s[0:1], v16, v12, v16
	v_fma_f32 v35, -v25, v31, 1.0
	v_fmac_f32_e32 v30, v34, v30
	v_mul_f32_e32 v33, v22, v29
	v_div_scale_f32 v26, s[2:3], v19, v21, v19
	v_fma_f32 v36, -v27, v32, 1.0
	v_fmac_f32_e32 v31, v35, v31
	v_mul_f32_e32 v34, v24, v30
	v_fma_f32 v37, -v15, v33, v22
	v_div_scale_f32 v28, s[4:5], v18, v20, v18
	v_fmac_f32_e32 v32, v36, v32
	v_mul_f32_e32 v35, v26, v31
	v_fma_f32 v38, -v23, v34, v24
	v_fmac_f32_e32 v33, v37, v29
	v_mul_f32_e32 v36, v28, v32
	v_fma_f32 v39, -v25, v35, v26
	v_fmac_f32_e32 v34, v38, v30
	v_fma_f32 v15, -v15, v33, v22
	v_fma_f32 v40, -v27, v36, v28
	v_fmac_f32_e32 v35, v39, v31
	v_fma_f32 v22, -v23, v34, v24
	v_div_fmas_f32 v15, v15, v29, v33
	s_mov_b64 vcc, s[0:1]
	v_fmac_f32_e32 v36, v40, v32
	v_fma_f32 v23, -v25, v35, v26
	v_div_fixup_f32 v13, v15, v13, v17
	v_div_fmas_f32 v15, v22, v30, v34
	s_mov_b64 vcc, s[2:3]
	v_fma_f32 v24, -v27, v36, v28
	v_div_fixup_f32 v12, v15, v12, v16
	v_div_fmas_f32 v15, v23, v31, v35
	s_mov_b64 vcc, s[4:5]
	v_div_fmas_f32 v16, v24, v32, v36
	v_div_fixup_f32 v15, v15, v21, v19
	v_cvt_pk_f16_f32 v12, v12, v13
	v_div_fixup_f32 v13, v16, v20, v18
	v_cvt_pk_f16_f32 v13, v13, v15
	global_store_dwordx2 v[8:9], v[12:13], off
	v_lshl_add_u64 v[8:9], v[8:9], 0, 8
	s_andn2_b64 exec, exec, s[18:19]
	s_cbranch_execnz .LBB25_3
; %bb.4:
	s_or_b64 exec, exec, s[18:19]
	v_cmp_ne_u64_e32 vcc, v[2:3], v[4:5]
	v_lshl_add_u64 v[0:1], v[4:5], 0, v[0:1]
	s_orn2_b64 s[0:1], vcc, exec
.LBB25_5:
	s_or_b64 exec, exec, s[16:17]
	s_and_b64 exec, exec, s[0:1]
	s_cbranch_execz .LBB25_8
; %bb.6:
	s_mov_b32 s13, 0
	v_lshl_add_u64 v[2:3], v[0:1], 0, s[14:15]
	v_lshlrev_b64 v[2:3], 1, v[2:3]
	s_lshl_b32 s0, s12, 1
	s_mov_b32 s1, s13
	s_mov_b64 s[2:3], 0
	s_mov_b32 s4, 0x3fb8aa3b
	s_mov_b32 s5, 0xc2ce8ed0
	;; [unrolled: 1-line block ×3, first 2 shown]
	v_mov_b32_e32 v4, 0x7f800000
.LBB25_7:                               ; =>This Inner Loop Header: Depth=1
	v_lshl_add_u64 v[6:7], s[10:11], 0, v[2:3]
	global_load_ushort v5, v[6:7], off
	v_lshl_add_u64 v[0:1], v[0:1], 0, s[12:13]
	v_lshl_add_u64 v[6:7], s[8:9], 0, v[2:3]
	;; [unrolled: 1-line block ×3, first 2 shown]
	s_waitcnt vmcnt(0)
	v_cvt_f32_f16_e32 v5, v5
	v_mul_f32_e32 v8, 0xbfd9db23, v5
	v_mul_f32_e32 v9, 0x3fb8aa3b, v8
	v_fma_f32 v10, v8, s4, -v9
	v_rndne_f32_e32 v11, v9
	v_fmac_f32_e32 v10, 0x32a5705f, v8
	v_sub_f32_e32 v9, v9, v11
	v_add_f32_e32 v9, v9, v10
	v_cvt_i32_f32_e32 v11, v11
	v_exp_f32_e32 v9, v9
	v_cmp_ngt_f32_e32 vcc, s5, v8
	v_ldexp_f32 v9, v9, v11
	s_nop 0
	v_cndmask_b32_e32 v9, 0, v9, vcc
	v_cmp_nlt_f32_e32 vcc, s14, v8
	s_nop 1
	v_cndmask_b32_e32 v8, v4, v9, vcc
	v_add_f32_e32 v8, 1.0, v8
	v_div_scale_f32 v9, s[16:17], v8, v8, v5
	v_rcp_f32_e32 v10, v9
	v_div_scale_f32 v11, vcc, v5, v8, v5
	v_fma_f32 v12, -v9, v10, 1.0
	v_fmac_f32_e32 v10, v12, v10
	v_mul_f32_e32 v12, v11, v10
	v_fma_f32 v13, -v9, v12, v11
	v_fmac_f32_e32 v12, v13, v10
	v_fma_f32 v9, -v9, v12, v11
	v_div_fmas_f32 v9, v9, v10, v12
	v_div_fixup_f32 v5, v9, v8, v5
	v_cvt_f16_f32_e32 v5, v5
	v_cmp_le_i64_e32 vcc, s[6:7], v[0:1]
	s_or_b64 s[2:3], vcc, s[2:3]
	global_store_short v[6:7], v5, off
	s_andn2_b64 exec, exec, s[2:3]
	s_cbranch_execnz .LBB25_7
.LBB25_8:
	s_endpgm
	.section	.rodata,"a",@progbits
	.p2align	6, 0x0
	.amdhsa_kernel _ZN4vllm17activation_kernelIN3c104HalfETnPFT_RKS3_EXadL_ZNS_17gelu_quick_kernelIS2_EES3_S5_EEEEvPS3_PS4_i
		.amdhsa_group_segment_fixed_size 0
		.amdhsa_private_segment_fixed_size 0
		.amdhsa_kernarg_size 280
		.amdhsa_user_sgpr_count 2
		.amdhsa_user_sgpr_dispatch_ptr 0
		.amdhsa_user_sgpr_queue_ptr 0
		.amdhsa_user_sgpr_kernarg_segment_ptr 1
		.amdhsa_user_sgpr_dispatch_id 0
		.amdhsa_user_sgpr_kernarg_preload_length 0
		.amdhsa_user_sgpr_kernarg_preload_offset 0
		.amdhsa_user_sgpr_private_segment_size 0
		.amdhsa_uses_dynamic_stack 0
		.amdhsa_enable_private_segment 0
		.amdhsa_system_sgpr_workgroup_id_x 1
		.amdhsa_system_sgpr_workgroup_id_y 0
		.amdhsa_system_sgpr_workgroup_id_z 0
		.amdhsa_system_sgpr_workgroup_info 0
		.amdhsa_system_vgpr_workitem_id 0
		.amdhsa_next_free_vgpr 41
		.amdhsa_next_free_sgpr 23
		.amdhsa_accum_offset 44
		.amdhsa_reserve_vcc 1
		.amdhsa_float_round_mode_32 0
		.amdhsa_float_round_mode_16_64 0
		.amdhsa_float_denorm_mode_32 3
		.amdhsa_float_denorm_mode_16_64 3
		.amdhsa_dx10_clamp 1
		.amdhsa_ieee_mode 1
		.amdhsa_fp16_overflow 0
		.amdhsa_tg_split 0
		.amdhsa_exception_fp_ieee_invalid_op 0
		.amdhsa_exception_fp_denorm_src 0
		.amdhsa_exception_fp_ieee_div_zero 0
		.amdhsa_exception_fp_ieee_overflow 0
		.amdhsa_exception_fp_ieee_underflow 0
		.amdhsa_exception_fp_ieee_inexact 0
		.amdhsa_exception_int_div_zero 0
	.end_amdhsa_kernel
	.section	.text._ZN4vllm17activation_kernelIN3c104HalfETnPFT_RKS3_EXadL_ZNS_17gelu_quick_kernelIS2_EES3_S5_EEEEvPS3_PS4_i,"axG",@progbits,_ZN4vllm17activation_kernelIN3c104HalfETnPFT_RKS3_EXadL_ZNS_17gelu_quick_kernelIS2_EES3_S5_EEEEvPS3_PS4_i,comdat
.Lfunc_end25:
	.size	_ZN4vllm17activation_kernelIN3c104HalfETnPFT_RKS3_EXadL_ZNS_17gelu_quick_kernelIS2_EES3_S5_EEEEvPS3_PS4_i, .Lfunc_end25-_ZN4vllm17activation_kernelIN3c104HalfETnPFT_RKS3_EXadL_ZNS_17gelu_quick_kernelIS2_EES3_S5_EEEEvPS3_PS4_i
                                        ; -- End function
	.set _ZN4vllm17activation_kernelIN3c104HalfETnPFT_RKS3_EXadL_ZNS_17gelu_quick_kernelIS2_EES3_S5_EEEEvPS3_PS4_i.num_vgpr, 41
	.set _ZN4vllm17activation_kernelIN3c104HalfETnPFT_RKS3_EXadL_ZNS_17gelu_quick_kernelIS2_EES3_S5_EEEEvPS3_PS4_i.num_agpr, 0
	.set _ZN4vllm17activation_kernelIN3c104HalfETnPFT_RKS3_EXadL_ZNS_17gelu_quick_kernelIS2_EES3_S5_EEEEvPS3_PS4_i.numbered_sgpr, 23
	.set _ZN4vllm17activation_kernelIN3c104HalfETnPFT_RKS3_EXadL_ZNS_17gelu_quick_kernelIS2_EES3_S5_EEEEvPS3_PS4_i.num_named_barrier, 0
	.set _ZN4vllm17activation_kernelIN3c104HalfETnPFT_RKS3_EXadL_ZNS_17gelu_quick_kernelIS2_EES3_S5_EEEEvPS3_PS4_i.private_seg_size, 0
	.set _ZN4vllm17activation_kernelIN3c104HalfETnPFT_RKS3_EXadL_ZNS_17gelu_quick_kernelIS2_EES3_S5_EEEEvPS3_PS4_i.uses_vcc, 1
	.set _ZN4vllm17activation_kernelIN3c104HalfETnPFT_RKS3_EXadL_ZNS_17gelu_quick_kernelIS2_EES3_S5_EEEEvPS3_PS4_i.uses_flat_scratch, 0
	.set _ZN4vllm17activation_kernelIN3c104HalfETnPFT_RKS3_EXadL_ZNS_17gelu_quick_kernelIS2_EES3_S5_EEEEvPS3_PS4_i.has_dyn_sized_stack, 0
	.set _ZN4vllm17activation_kernelIN3c104HalfETnPFT_RKS3_EXadL_ZNS_17gelu_quick_kernelIS2_EES3_S5_EEEEvPS3_PS4_i.has_recursion, 0
	.set _ZN4vllm17activation_kernelIN3c104HalfETnPFT_RKS3_EXadL_ZNS_17gelu_quick_kernelIS2_EES3_S5_EEEEvPS3_PS4_i.has_indirect_call, 0
	.section	.AMDGPU.csdata,"",@progbits
; Kernel info:
; codeLenInByte = 1328
; TotalNumSgprs: 29
; NumVgprs: 41
; NumAgprs: 0
; TotalNumVgprs: 41
; ScratchSize: 0
; MemoryBound: 0
; FloatMode: 240
; IeeeMode: 1
; LDSByteSize: 0 bytes/workgroup (compile time only)
; SGPRBlocks: 3
; VGPRBlocks: 5
; NumSGPRsForWavesPerEU: 29
; NumVGPRsForWavesPerEU: 41
; AccumOffset: 44
; Occupancy: 8
; WaveLimiterHint : 0
; COMPUTE_PGM_RSRC2:SCRATCH_EN: 0
; COMPUTE_PGM_RSRC2:USER_SGPR: 2
; COMPUTE_PGM_RSRC2:TRAP_HANDLER: 0
; COMPUTE_PGM_RSRC2:TGID_X_EN: 1
; COMPUTE_PGM_RSRC2:TGID_Y_EN: 0
; COMPUTE_PGM_RSRC2:TGID_Z_EN: 0
; COMPUTE_PGM_RSRC2:TIDIG_COMP_CNT: 0
; COMPUTE_PGM_RSRC3_GFX90A:ACCUM_OFFSET: 10
; COMPUTE_PGM_RSRC3_GFX90A:TG_SPLIT: 0
	.section	.text._ZN4vllm17activation_kernelIN3c108BFloat16ETnPFT_RKS3_EXadL_ZNS_17gelu_quick_kernelIS2_EES3_S5_EEEEvPS3_PS4_i,"axG",@progbits,_ZN4vllm17activation_kernelIN3c108BFloat16ETnPFT_RKS3_EXadL_ZNS_17gelu_quick_kernelIS2_EES3_S5_EEEEvPS3_PS4_i,comdat
	.protected	_ZN4vllm17activation_kernelIN3c108BFloat16ETnPFT_RKS3_EXadL_ZNS_17gelu_quick_kernelIS2_EES3_S5_EEEEvPS3_PS4_i ; -- Begin function _ZN4vllm17activation_kernelIN3c108BFloat16ETnPFT_RKS3_EXadL_ZNS_17gelu_quick_kernelIS2_EES3_S5_EEEEvPS3_PS4_i
	.globl	_ZN4vllm17activation_kernelIN3c108BFloat16ETnPFT_RKS3_EXadL_ZNS_17gelu_quick_kernelIS2_EES3_S5_EEEEvPS3_PS4_i
	.p2align	8
	.type	_ZN4vllm17activation_kernelIN3c108BFloat16ETnPFT_RKS3_EXadL_ZNS_17gelu_quick_kernelIS2_EES3_S5_EEEEvPS3_PS4_i,@function
_ZN4vllm17activation_kernelIN3c108BFloat16ETnPFT_RKS3_EXadL_ZNS_17gelu_quick_kernelIS2_EES3_S5_EEEEvPS3_PS4_i: ; @_ZN4vllm17activation_kernelIN3c108BFloat16ETnPFT_RKS3_EXadL_ZNS_17gelu_quick_kernelIS2_EES3_S5_EEEEvPS3_PS4_i
; %bb.0:
	s_load_dword s6, s[0:1], 0x10
	s_waitcnt lgkmcnt(0)
	v_cmp_gt_i32_e32 vcc, s6, v0
	s_and_saveexec_b64 s[4:5], vcc
	s_cbranch_execz .LBB26_8
; %bb.1:
	v_mov_b32_e32 v1, 0
	s_load_dwordx4 s[8:11], s[0:1], 0x0
	s_load_dword s3, s[0:1], 0x24
	s_ashr_i32 s7, s6, 31
	v_add_u32_e32 v2, 1, v0
	v_mov_b32_e32 v3, v1
	v_mov_b32_e32 v4, s7
	v_cmp_lt_i64_e32 vcc, s[6:7], v[2:3]
	s_mul_hi_u32 s0, s6, s2
	s_mul_i32 s1, s7, s2
	v_cndmask_b32_e64 v3, v4, 0, vcc
	v_mov_b32_e32 v4, s6
	v_cndmask_b32_e32 v2, v4, v2, vcc
	s_add_i32 s15, s0, s1
	s_waitcnt lgkmcnt(0)
	s_and_b32 s12, s3, 0xffff
	v_sub_co_u32_e32 v2, vcc, v2, v0
	s_cmp_eq_u32 s12, 1
	s_nop 0
	v_subbrev_co_u32_e32 v3, vcc, 0, v3, vcc
	v_cmp_lt_u64_e32 vcc, 3, v[2:3]
	s_cselect_b64 s[0:1], -1, 0
	s_mul_i32 s14, s6, s2
	s_and_b64 s[2:3], vcc, s[0:1]
	s_mov_b64 s[0:1], -1
	s_and_saveexec_b64 s[16:17], s[2:3]
	s_cbranch_execz .LBB26_5
; %bb.2:
	v_lshl_add_u64 v[6:7], v[0:1], 0, s[14:15]
	v_and_b32_e32 v4, -4, v2
	v_mov_b32_e32 v5, v3
	v_lshlrev_b64 v[8:9], 1, v[6:7]
	v_lshl_add_u64 v[6:7], s[10:11], 0, v[8:9]
	v_lshl_add_u64 v[8:9], s[8:9], 0, v[8:9]
	s_mov_b64 s[18:19], 0
	s_mov_b32 s20, 0xbfd9db23
	s_mov_b32 s13, 0x3fb8aa3b
	;; [unrolled: 1-line block ×4, first 2 shown]
	v_mov_b32_e32 v14, 0x7f800000
	s_movk_i32 s23, 0x7fff
	v_mov_b32_e32 v15, 0x7fc0
	s_mov_b32 s24, 0x5040100
	v_mov_b64_e32 v[10:11], v[4:5]
.LBB26_3:                               ; =>This Inner Loop Header: Depth=1
	global_load_dwordx2 v[12:13], v[6:7], off
	v_lshl_add_u64 v[10:11], v[10:11], 0, -4
	v_cmp_eq_u64_e32 vcc, 0, v[10:11]
	s_or_b64 s[18:19], vcc, s[18:19]
	v_lshl_add_u64 v[6:7], v[6:7], 0, 8
	s_waitcnt vmcnt(0)
	v_and_b32_e32 v17, 0xffff0000, v13
	v_lshlrev_b32_e32 v16, 16, v13
	v_and_b32_e32 v19, 0xffff0000, v12
	v_lshlrev_b32_e32 v18, 16, v12
	v_pk_mul_f32 v[20:21], v[16:17], s[20:21] op_sel_hi:[1,0]
	v_pk_mul_f32 v[12:13], v[18:19], s[20:21] op_sel_hi:[1,0]
	v_mul_f32_e32 v22, 0x3fb8aa3b, v21
	v_mul_f32_e32 v23, 0x3fb8aa3b, v20
	;; [unrolled: 1-line block ×4, first 2 shown]
	v_fma_f32 v26, v21, s13, -v22
	v_rndne_f32_e32 v27, v22
	v_fma_f32 v28, v20, s13, -v23
	v_rndne_f32_e32 v29, v23
	v_fma_f32 v30, v13, s13, -v24
	v_rndne_f32_e32 v31, v24
	v_fma_f32 v32, v12, s13, -v25
	v_rndne_f32_e32 v33, v25
	v_fmac_f32_e32 v26, 0x32a5705f, v21
	v_sub_f32_e32 v22, v22, v27
	v_fmac_f32_e32 v28, 0x32a5705f, v20
	v_sub_f32_e32 v23, v23, v29
	;; [unrolled: 2-line block ×4, first 2 shown]
	v_add_f32_e32 v22, v22, v26
	v_add_f32_e32 v23, v23, v28
	v_cvt_i32_f32_e32 v27, v27
	v_cvt_i32_f32_e32 v29, v29
	v_add_f32_e32 v24, v24, v30
	v_add_f32_e32 v25, v25, v32
	v_exp_f32_e32 v22, v22
	v_exp_f32_e32 v23, v23
	v_cvt_i32_f32_e32 v31, v31
	v_cvt_i32_f32_e32 v33, v33
	v_exp_f32_e32 v24, v24
	v_exp_f32_e32 v25, v25
	v_ldexp_f32 v22, v22, v27
	v_ldexp_f32 v23, v23, v29
	v_cmp_ngt_f32_e32 vcc, s21, v20
	v_cmp_ngt_f32_e64 s[4:5], s21, v21
	v_ldexp_f32 v24, v24, v31
	v_cmp_ngt_f32_e64 s[0:1], s21, v13
	v_ldexp_f32 v25, v25, v33
	v_cmp_ngt_f32_e64 s[2:3], s21, v12
	v_cndmask_b32_e64 v22, 0, v22, s[4:5]
	v_cndmask_b32_e32 v23, 0, v23, vcc
	v_cmp_nlt_f32_e32 vcc, s22, v20
	v_cmp_nlt_f32_e64 s[4:5], s22, v21
	v_cndmask_b32_e64 v20, 0, v24, s[0:1]
	v_cmp_nlt_f32_e64 s[0:1], s22, v13
	v_cndmask_b32_e64 v24, 0, v25, s[2:3]
	;; [unrolled: 2-line block ×3, first 2 shown]
	v_cndmask_b32_e32 v12, v14, v23, vcc
	v_pk_add_f32 v[12:13], v[12:13], 1.0 op_sel_hi:[1,0]
	v_cndmask_b32_e64 v21, v14, v20, s[0:1]
	v_cndmask_b32_e64 v20, v14, v24, s[2:3]
	v_div_scale_f32 v22, s[0:1], v13, v13, v17
	v_pk_add_f32 v[20:21], v[20:21], 1.0 op_sel_hi:[1,0]
	v_div_scale_f32 v24, s[0:1], v12, v12, v16
	v_rcp_f32_e32 v30, v22
	v_div_scale_f32 v26, s[2:3], v21, v21, v19
	v_rcp_f32_e32 v31, v24
	;; [unrolled: 2-line block ×3, first 2 shown]
	v_rcp_f32_e32 v33, v28
	v_fma_f32 v34, -v22, v30, 1.0
	v_div_scale_f32 v23, vcc, v17, v13, v17
	v_fma_f32 v35, -v24, v31, 1.0
	v_fmac_f32_e32 v30, v34, v30
	v_div_scale_f32 v25, s[0:1], v16, v12, v16
	v_fma_f32 v36, -v26, v32, 1.0
	v_fmac_f32_e32 v31, v35, v31
	v_mul_f32_e32 v34, v23, v30
	v_div_scale_f32 v27, s[2:3], v19, v21, v19
	v_fma_f32 v37, -v28, v33, 1.0
	v_fmac_f32_e32 v32, v36, v32
	v_mul_f32_e32 v35, v25, v31
	v_fma_f32 v38, -v22, v34, v23
	v_div_scale_f32 v29, s[4:5], v18, v20, v18
	v_fmac_f32_e32 v33, v37, v33
	v_mul_f32_e32 v36, v27, v32
	v_fma_f32 v39, -v24, v35, v25
	v_fmac_f32_e32 v34, v38, v30
	v_mul_f32_e32 v37, v29, v33
	v_fma_f32 v40, -v26, v36, v27
	v_fmac_f32_e32 v35, v39, v31
	v_fma_f32 v22, -v22, v34, v23
	v_fma_f32 v41, -v28, v37, v29
	v_fmac_f32_e32 v36, v40, v32
	v_fma_f32 v23, -v24, v35, v25
	v_div_fmas_f32 v22, v22, v30, v34
	s_mov_b64 vcc, s[0:1]
	v_fmac_f32_e32 v37, v41, v33
	v_fma_f32 v24, -v26, v36, v27
	v_div_fixup_f32 v13, v22, v13, v17
	v_div_fmas_f32 v17, v23, v31, v35
	s_mov_b64 vcc, s[2:3]
	v_fma_f32 v25, -v28, v37, v29
	v_div_fixup_f32 v12, v17, v12, v16
	v_div_fmas_f32 v16, v24, v32, v36
	s_mov_b64 vcc, s[4:5]
	v_bfe_u32 v17, v13, 16, 1
	v_div_fixup_f32 v16, v16, v21, v19
	v_div_fmas_f32 v19, v25, v33, v37
	v_bfe_u32 v21, v12, 16, 1
	v_add3_u32 v17, v13, v17, s23
	v_div_fixup_f32 v18, v19, v20, v18
	v_bfe_u32 v19, v16, 16, 1
	v_add3_u32 v20, v12, v21, s23
	v_lshrrev_b32_e32 v17, 16, v17
	v_cmp_o_f32_e32 vcc, v13, v13
	v_bfe_u32 v13, v18, 16, 1
	v_add3_u32 v19, v16, v19, s23
	v_lshrrev_b32_e32 v20, 16, v20
	v_cmp_o_f32_e64 s[0:1], v12, v12
	v_cndmask_b32_e32 v12, v15, v17, vcc
	v_add3_u32 v13, v18, v13, s23
	v_lshrrev_b32_e32 v17, 16, v19
	v_cmp_o_f32_e32 vcc, v16, v16
	v_cndmask_b32_e64 v16, v15, v20, s[0:1]
	v_lshrrev_b32_e32 v19, 16, v13
	v_cndmask_b32_e32 v17, v15, v17, vcc
	v_cmp_o_f32_e32 vcc, v18, v18
	v_perm_b32 v13, v12, v16, s24
	s_nop 0
	v_cndmask_b32_e32 v12, v15, v19, vcc
	v_perm_b32 v12, v17, v12, s24
	global_store_dwordx2 v[8:9], v[12:13], off
	v_lshl_add_u64 v[8:9], v[8:9], 0, 8
	s_andn2_b64 exec, exec, s[18:19]
	s_cbranch_execnz .LBB26_3
; %bb.4:
	s_or_b64 exec, exec, s[18:19]
	v_cmp_ne_u64_e32 vcc, v[2:3], v[4:5]
	v_lshl_add_u64 v[0:1], v[4:5], 0, v[0:1]
	s_orn2_b64 s[0:1], vcc, exec
.LBB26_5:
	s_or_b64 exec, exec, s[16:17]
	s_and_b64 exec, exec, s[0:1]
	s_cbranch_execz .LBB26_8
; %bb.6:
	s_mov_b32 s13, 0
	v_lshl_add_u64 v[2:3], v[0:1], 0, s[14:15]
	v_lshlrev_b64 v[2:3], 1, v[2:3]
	s_lshl_b32 s0, s12, 1
	s_mov_b32 s1, s13
	s_mov_b64 s[2:3], 0
	s_mov_b32 s4, 0x3fb8aa3b
	s_mov_b32 s5, 0xc2ce8ed0
	;; [unrolled: 1-line block ×3, first 2 shown]
	v_mov_b32_e32 v4, 0x7f800000
	s_movk_i32 s15, 0x7fff
	v_mov_b32_e32 v5, 0x7fc0
.LBB26_7:                               ; =>This Inner Loop Header: Depth=1
	v_lshl_add_u64 v[6:7], s[10:11], 0, v[2:3]
	global_load_ushort v8, v[6:7], off
	v_lshl_add_u64 v[0:1], v[0:1], 0, s[12:13]
	v_cmp_le_i64_e32 vcc, s[6:7], v[0:1]
	s_or_b64 s[2:3], vcc, s[2:3]
	v_lshl_add_u64 v[6:7], s[8:9], 0, v[2:3]
	v_lshl_add_u64 v[2:3], v[2:3], 0, s[0:1]
	s_waitcnt vmcnt(0)
	v_lshlrev_b32_e32 v8, 16, v8
	v_mul_f32_e32 v9, 0xbfd9db23, v8
	v_mul_f32_e32 v10, 0x3fb8aa3b, v9
	v_fma_f32 v11, v9, s4, -v10
	v_rndne_f32_e32 v12, v10
	v_fmac_f32_e32 v11, 0x32a5705f, v9
	v_sub_f32_e32 v10, v10, v12
	v_add_f32_e32 v10, v10, v11
	v_cvt_i32_f32_e32 v12, v12
	v_exp_f32_e32 v10, v10
	v_cmp_ngt_f32_e32 vcc, s5, v9
	v_ldexp_f32 v10, v10, v12
	s_nop 0
	v_cndmask_b32_e32 v10, 0, v10, vcc
	v_cmp_nlt_f32_e32 vcc, s14, v9
	s_nop 1
	v_cndmask_b32_e32 v9, v4, v10, vcc
	v_add_f32_e32 v9, 1.0, v9
	v_div_scale_f32 v10, s[16:17], v9, v9, v8
	v_rcp_f32_e32 v12, v10
	v_div_scale_f32 v11, vcc, v8, v9, v8
	v_fma_f32 v13, -v10, v12, 1.0
	v_fmac_f32_e32 v12, v13, v12
	v_mul_f32_e32 v13, v11, v12
	v_fma_f32 v14, -v10, v13, v11
	v_fmac_f32_e32 v13, v14, v12
	v_fma_f32 v10, -v10, v13, v11
	v_div_fmas_f32 v10, v10, v12, v13
	v_div_fixup_f32 v8, v10, v9, v8
	v_bfe_u32 v9, v8, 16, 1
	v_cmp_o_f32_e32 vcc, v8, v8
	v_add3_u32 v8, v8, v9, s15
	s_nop 0
	v_cndmask_b32_sdwa v8, v5, v8, vcc dst_sel:DWORD dst_unused:UNUSED_PAD src0_sel:DWORD src1_sel:WORD_1
	global_store_short v[6:7], v8, off
	s_andn2_b64 exec, exec, s[2:3]
	s_cbranch_execnz .LBB26_7
.LBB26_8:
	s_endpgm
	.section	.rodata,"a",@progbits
	.p2align	6, 0x0
	.amdhsa_kernel _ZN4vllm17activation_kernelIN3c108BFloat16ETnPFT_RKS3_EXadL_ZNS_17gelu_quick_kernelIS2_EES3_S5_EEEEvPS3_PS4_i
		.amdhsa_group_segment_fixed_size 0
		.amdhsa_private_segment_fixed_size 0
		.amdhsa_kernarg_size 280
		.amdhsa_user_sgpr_count 2
		.amdhsa_user_sgpr_dispatch_ptr 0
		.amdhsa_user_sgpr_queue_ptr 0
		.amdhsa_user_sgpr_kernarg_segment_ptr 1
		.amdhsa_user_sgpr_dispatch_id 0
		.amdhsa_user_sgpr_kernarg_preload_length 0
		.amdhsa_user_sgpr_kernarg_preload_offset 0
		.amdhsa_user_sgpr_private_segment_size 0
		.amdhsa_uses_dynamic_stack 0
		.amdhsa_enable_private_segment 0
		.amdhsa_system_sgpr_workgroup_id_x 1
		.amdhsa_system_sgpr_workgroup_id_y 0
		.amdhsa_system_sgpr_workgroup_id_z 0
		.amdhsa_system_sgpr_workgroup_info 0
		.amdhsa_system_vgpr_workitem_id 0
		.amdhsa_next_free_vgpr 42
		.amdhsa_next_free_sgpr 25
		.amdhsa_accum_offset 44
		.amdhsa_reserve_vcc 1
		.amdhsa_float_round_mode_32 0
		.amdhsa_float_round_mode_16_64 0
		.amdhsa_float_denorm_mode_32 3
		.amdhsa_float_denorm_mode_16_64 3
		.amdhsa_dx10_clamp 1
		.amdhsa_ieee_mode 1
		.amdhsa_fp16_overflow 0
		.amdhsa_tg_split 0
		.amdhsa_exception_fp_ieee_invalid_op 0
		.amdhsa_exception_fp_denorm_src 0
		.amdhsa_exception_fp_ieee_div_zero 0
		.amdhsa_exception_fp_ieee_overflow 0
		.amdhsa_exception_fp_ieee_underflow 0
		.amdhsa_exception_fp_ieee_inexact 0
		.amdhsa_exception_int_div_zero 0
	.end_amdhsa_kernel
	.section	.text._ZN4vllm17activation_kernelIN3c108BFloat16ETnPFT_RKS3_EXadL_ZNS_17gelu_quick_kernelIS2_EES3_S5_EEEEvPS3_PS4_i,"axG",@progbits,_ZN4vllm17activation_kernelIN3c108BFloat16ETnPFT_RKS3_EXadL_ZNS_17gelu_quick_kernelIS2_EES3_S5_EEEEvPS3_PS4_i,comdat
.Lfunc_end26:
	.size	_ZN4vllm17activation_kernelIN3c108BFloat16ETnPFT_RKS3_EXadL_ZNS_17gelu_quick_kernelIS2_EES3_S5_EEEEvPS3_PS4_i, .Lfunc_end26-_ZN4vllm17activation_kernelIN3c108BFloat16ETnPFT_RKS3_EXadL_ZNS_17gelu_quick_kernelIS2_EES3_S5_EEEEvPS3_PS4_i
                                        ; -- End function
	.set _ZN4vllm17activation_kernelIN3c108BFloat16ETnPFT_RKS3_EXadL_ZNS_17gelu_quick_kernelIS2_EES3_S5_EEEEvPS3_PS4_i.num_vgpr, 42
	.set _ZN4vllm17activation_kernelIN3c108BFloat16ETnPFT_RKS3_EXadL_ZNS_17gelu_quick_kernelIS2_EES3_S5_EEEEvPS3_PS4_i.num_agpr, 0
	.set _ZN4vllm17activation_kernelIN3c108BFloat16ETnPFT_RKS3_EXadL_ZNS_17gelu_quick_kernelIS2_EES3_S5_EEEEvPS3_PS4_i.numbered_sgpr, 25
	.set _ZN4vllm17activation_kernelIN3c108BFloat16ETnPFT_RKS3_EXadL_ZNS_17gelu_quick_kernelIS2_EES3_S5_EEEEvPS3_PS4_i.num_named_barrier, 0
	.set _ZN4vllm17activation_kernelIN3c108BFloat16ETnPFT_RKS3_EXadL_ZNS_17gelu_quick_kernelIS2_EES3_S5_EEEEvPS3_PS4_i.private_seg_size, 0
	.set _ZN4vllm17activation_kernelIN3c108BFloat16ETnPFT_RKS3_EXadL_ZNS_17gelu_quick_kernelIS2_EES3_S5_EEEEvPS3_PS4_i.uses_vcc, 1
	.set _ZN4vllm17activation_kernelIN3c108BFloat16ETnPFT_RKS3_EXadL_ZNS_17gelu_quick_kernelIS2_EES3_S5_EEEEvPS3_PS4_i.uses_flat_scratch, 0
	.set _ZN4vllm17activation_kernelIN3c108BFloat16ETnPFT_RKS3_EXadL_ZNS_17gelu_quick_kernelIS2_EES3_S5_EEEEvPS3_PS4_i.has_dyn_sized_stack, 0
	.set _ZN4vllm17activation_kernelIN3c108BFloat16ETnPFT_RKS3_EXadL_ZNS_17gelu_quick_kernelIS2_EES3_S5_EEEEvPS3_PS4_i.has_recursion, 0
	.set _ZN4vllm17activation_kernelIN3c108BFloat16ETnPFT_RKS3_EXadL_ZNS_17gelu_quick_kernelIS2_EES3_S5_EEEEvPS3_PS4_i.has_indirect_call, 0
	.section	.AMDGPU.csdata,"",@progbits
; Kernel info:
; codeLenInByte = 1508
; TotalNumSgprs: 31
; NumVgprs: 42
; NumAgprs: 0
; TotalNumVgprs: 42
; ScratchSize: 0
; MemoryBound: 0
; FloatMode: 240
; IeeeMode: 1
; LDSByteSize: 0 bytes/workgroup (compile time only)
; SGPRBlocks: 3
; VGPRBlocks: 5
; NumSGPRsForWavesPerEU: 31
; NumVGPRsForWavesPerEU: 42
; AccumOffset: 44
; Occupancy: 8
; WaveLimiterHint : 0
; COMPUTE_PGM_RSRC2:SCRATCH_EN: 0
; COMPUTE_PGM_RSRC2:USER_SGPR: 2
; COMPUTE_PGM_RSRC2:TRAP_HANDLER: 0
; COMPUTE_PGM_RSRC2:TGID_X_EN: 1
; COMPUTE_PGM_RSRC2:TGID_Y_EN: 0
; COMPUTE_PGM_RSRC2:TGID_Z_EN: 0
; COMPUTE_PGM_RSRC2:TIDIG_COMP_CNT: 0
; COMPUTE_PGM_RSRC3_GFX90A:ACCUM_OFFSET: 10
; COMPUTE_PGM_RSRC3_GFX90A:TG_SPLIT: 0
	.section	.AMDGPU.gpr_maximums,"",@progbits
	.set amdgpu.max_num_vgpr, 0
	.set amdgpu.max_num_agpr, 0
	.set amdgpu.max_num_sgpr, 0
	.section	.AMDGPU.csdata,"",@progbits
	.type	__hip_cuid_a99c04fd29189d3c,@object ; @__hip_cuid_a99c04fd29189d3c
	.section	.bss,"aw",@nobits
	.globl	__hip_cuid_a99c04fd29189d3c
__hip_cuid_a99c04fd29189d3c:
	.byte	0                               ; 0x0
	.size	__hip_cuid_a99c04fd29189d3c, 1

	.ident	"AMD clang version 22.0.0git (https://github.com/RadeonOpenCompute/llvm-project roc-7.2.4 26084 f58b06dce1f9c15707c5f808fd002e18c2accf7e)"
	.section	".note.GNU-stack","",@progbits
	.addrsig
	.addrsig_sym __hip_cuid_a99c04fd29189d3c
	.amdgpu_metadata
---
amdhsa.kernels:
  - .agpr_count:     0
    .args:
      - .actual_access:  write_only
        .address_space:  global
        .offset:         0
        .size:           8
        .value_kind:     global_buffer
      - .actual_access:  read_only
        .address_space:  global
        .offset:         8
        .size:           8
        .value_kind:     global_buffer
      - .offset:         16
        .size:           4
        .value_kind:     by_value
      - .offset:         24
        .size:           4
        .value_kind:     hidden_block_count_x
      - .offset:         28
        .size:           4
        .value_kind:     hidden_block_count_y
      - .offset:         32
        .size:           4
        .value_kind:     hidden_block_count_z
      - .offset:         36
        .size:           2
        .value_kind:     hidden_group_size_x
      - .offset:         38
        .size:           2
        .value_kind:     hidden_group_size_y
      - .offset:         40
        .size:           2
        .value_kind:     hidden_group_size_z
      - .offset:         42
        .size:           2
        .value_kind:     hidden_remainder_x
      - .offset:         44
        .size:           2
        .value_kind:     hidden_remainder_y
      - .offset:         46
        .size:           2
        .value_kind:     hidden_remainder_z
      - .offset:         64
        .size:           8
        .value_kind:     hidden_global_offset_x
      - .offset:         72
        .size:           8
        .value_kind:     hidden_global_offset_y
      - .offset:         80
        .size:           8
        .value_kind:     hidden_global_offset_z
      - .offset:         88
        .size:           2
        .value_kind:     hidden_grid_dims
    .group_segment_fixed_size: 0
    .kernarg_segment_align: 8
    .kernarg_segment_size: 280
    .language:       OpenCL C
    .language_version:
      - 2
      - 0
    .max_flat_workgroup_size: 1024
    .name:           _ZN4vllm18act_and_mul_kernelIfTnPFT_RKS1_EXadL_ZNS_11silu_kernelIfEES1_S3_EELb1EEEvPS1_PS2_i
    .private_segment_fixed_size: 0
    .sgpr_count:     26
    .sgpr_spill_count: 0
    .symbol:         _ZN4vllm18act_and_mul_kernelIfTnPFT_RKS1_EXadL_ZNS_11silu_kernelIfEES1_S3_EELb1EEEvPS1_PS2_i.kd
    .uniform_work_group_size: 1
    .uses_dynamic_stack: false
    .vgpr_count:     31
    .vgpr_spill_count: 0
    .wavefront_size: 64
  - .agpr_count:     0
    .args:
      - .actual_access:  write_only
        .address_space:  global
        .offset:         0
        .size:           8
        .value_kind:     global_buffer
      - .actual_access:  read_only
        .address_space:  global
        .offset:         8
        .size:           8
        .value_kind:     global_buffer
      - .offset:         16
        .size:           4
        .value_kind:     by_value
      - .offset:         24
        .size:           4
        .value_kind:     hidden_block_count_x
      - .offset:         28
        .size:           4
        .value_kind:     hidden_block_count_y
      - .offset:         32
        .size:           4
        .value_kind:     hidden_block_count_z
      - .offset:         36
        .size:           2
        .value_kind:     hidden_group_size_x
      - .offset:         38
        .size:           2
        .value_kind:     hidden_group_size_y
      - .offset:         40
        .size:           2
        .value_kind:     hidden_group_size_z
      - .offset:         42
        .size:           2
        .value_kind:     hidden_remainder_x
      - .offset:         44
        .size:           2
        .value_kind:     hidden_remainder_y
      - .offset:         46
        .size:           2
        .value_kind:     hidden_remainder_z
      - .offset:         64
        .size:           8
        .value_kind:     hidden_global_offset_x
      - .offset:         72
        .size:           8
        .value_kind:     hidden_global_offset_y
      - .offset:         80
        .size:           8
        .value_kind:     hidden_global_offset_z
      - .offset:         88
        .size:           2
        .value_kind:     hidden_grid_dims
    .group_segment_fixed_size: 0
    .kernarg_segment_align: 8
    .kernarg_segment_size: 280
    .language:       OpenCL C
    .language_version:
      - 2
      - 0
    .max_flat_workgroup_size: 1024
    .name:           _ZN4vllm18act_and_mul_kernelIN3c104HalfETnPFT_RKS3_EXadL_ZNS_11silu_kernelIS2_EES3_S5_EELb1EEEvPS3_PS4_i
    .private_segment_fixed_size: 0
    .sgpr_count:     31
    .sgpr_spill_count: 0
    .symbol:         _ZN4vllm18act_and_mul_kernelIN3c104HalfETnPFT_RKS3_EXadL_ZNS_11silu_kernelIS2_EES3_S5_EELb1EEEvPS3_PS4_i.kd
    .uniform_work_group_size: 1
    .uses_dynamic_stack: false
    .vgpr_count:     45
    .vgpr_spill_count: 0
    .wavefront_size: 64
  - .agpr_count:     0
    .args:
      - .actual_access:  write_only
        .address_space:  global
        .offset:         0
        .size:           8
        .value_kind:     global_buffer
      - .actual_access:  read_only
        .address_space:  global
        .offset:         8
        .size:           8
        .value_kind:     global_buffer
      - .offset:         16
        .size:           4
        .value_kind:     by_value
      - .offset:         24
        .size:           4
        .value_kind:     hidden_block_count_x
      - .offset:         28
        .size:           4
        .value_kind:     hidden_block_count_y
      - .offset:         32
        .size:           4
        .value_kind:     hidden_block_count_z
      - .offset:         36
        .size:           2
        .value_kind:     hidden_group_size_x
      - .offset:         38
        .size:           2
        .value_kind:     hidden_group_size_y
      - .offset:         40
        .size:           2
        .value_kind:     hidden_group_size_z
      - .offset:         42
        .size:           2
        .value_kind:     hidden_remainder_x
      - .offset:         44
        .size:           2
        .value_kind:     hidden_remainder_y
      - .offset:         46
        .size:           2
        .value_kind:     hidden_remainder_z
      - .offset:         64
        .size:           8
        .value_kind:     hidden_global_offset_x
      - .offset:         72
        .size:           8
        .value_kind:     hidden_global_offset_y
      - .offset:         80
        .size:           8
        .value_kind:     hidden_global_offset_z
      - .offset:         88
        .size:           2
        .value_kind:     hidden_grid_dims
    .group_segment_fixed_size: 0
    .kernarg_segment_align: 8
    .kernarg_segment_size: 280
    .language:       OpenCL C
    .language_version:
      - 2
      - 0
    .max_flat_workgroup_size: 1024
    .name:           _ZN4vllm18act_and_mul_kernelIN3c108BFloat16ETnPFT_RKS3_EXadL_ZNS_11silu_kernelIS2_EES3_S5_EELb1EEEvPS3_PS4_i
    .private_segment_fixed_size: 0
    .sgpr_count:     32
    .sgpr_spill_count: 0
    .symbol:         _ZN4vllm18act_and_mul_kernelIN3c108BFloat16ETnPFT_RKS3_EXadL_ZNS_11silu_kernelIS2_EES3_S5_EELb1EEEvPS3_PS4_i.kd
    .uniform_work_group_size: 1
    .uses_dynamic_stack: false
    .vgpr_count:     49
    .vgpr_spill_count: 0
    .wavefront_size: 64
  - .agpr_count:     0
    .args:
      - .actual_access:  write_only
        .address_space:  global
        .offset:         0
        .size:           8
        .value_kind:     global_buffer
      - .actual_access:  read_only
        .address_space:  global
        .offset:         8
        .size:           8
        .value_kind:     global_buffer
      - .offset:         16
        .size:           4
        .value_kind:     by_value
      - .offset:         24
        .size:           4
        .value_kind:     hidden_block_count_x
      - .offset:         28
        .size:           4
        .value_kind:     hidden_block_count_y
      - .offset:         32
        .size:           4
        .value_kind:     hidden_block_count_z
      - .offset:         36
        .size:           2
        .value_kind:     hidden_group_size_x
      - .offset:         38
        .size:           2
        .value_kind:     hidden_group_size_y
      - .offset:         40
        .size:           2
        .value_kind:     hidden_group_size_z
      - .offset:         42
        .size:           2
        .value_kind:     hidden_remainder_x
      - .offset:         44
        .size:           2
        .value_kind:     hidden_remainder_y
      - .offset:         46
        .size:           2
        .value_kind:     hidden_remainder_z
      - .offset:         64
        .size:           8
        .value_kind:     hidden_global_offset_x
      - .offset:         72
        .size:           8
        .value_kind:     hidden_global_offset_y
      - .offset:         80
        .size:           8
        .value_kind:     hidden_global_offset_z
      - .offset:         88
        .size:           2
        .value_kind:     hidden_grid_dims
    .group_segment_fixed_size: 0
    .kernarg_segment_align: 8
    .kernarg_segment_size: 280
    .language:       OpenCL C
    .language_version:
      - 2
      - 0
    .max_flat_workgroup_size: 1024
    .name:           _ZN4vllm18act_and_mul_kernelIfTnPFT_RKS1_EXadL_ZNS_11silu_kernelIfEES1_S3_EELb0EEEvPS1_PS2_i
    .private_segment_fixed_size: 0
    .sgpr_count:     26
    .sgpr_spill_count: 0
    .symbol:         _ZN4vllm18act_and_mul_kernelIfTnPFT_RKS1_EXadL_ZNS_11silu_kernelIfEES1_S3_EELb0EEEvPS1_PS2_i.kd
    .uniform_work_group_size: 1
    .uses_dynamic_stack: false
    .vgpr_count:     31
    .vgpr_spill_count: 0
    .wavefront_size: 64
  - .agpr_count:     0
    .args:
      - .actual_access:  write_only
        .address_space:  global
        .offset:         0
        .size:           8
        .value_kind:     global_buffer
      - .actual_access:  read_only
        .address_space:  global
        .offset:         8
        .size:           8
        .value_kind:     global_buffer
      - .offset:         16
        .size:           4
        .value_kind:     by_value
      - .offset:         24
        .size:           4
        .value_kind:     hidden_block_count_x
      - .offset:         28
        .size:           4
        .value_kind:     hidden_block_count_y
      - .offset:         32
        .size:           4
        .value_kind:     hidden_block_count_z
      - .offset:         36
        .size:           2
        .value_kind:     hidden_group_size_x
      - .offset:         38
        .size:           2
        .value_kind:     hidden_group_size_y
      - .offset:         40
        .size:           2
        .value_kind:     hidden_group_size_z
      - .offset:         42
        .size:           2
        .value_kind:     hidden_remainder_x
      - .offset:         44
        .size:           2
        .value_kind:     hidden_remainder_y
      - .offset:         46
        .size:           2
        .value_kind:     hidden_remainder_z
      - .offset:         64
        .size:           8
        .value_kind:     hidden_global_offset_x
      - .offset:         72
        .size:           8
        .value_kind:     hidden_global_offset_y
      - .offset:         80
        .size:           8
        .value_kind:     hidden_global_offset_z
      - .offset:         88
        .size:           2
        .value_kind:     hidden_grid_dims
    .group_segment_fixed_size: 0
    .kernarg_segment_align: 8
    .kernarg_segment_size: 280
    .language:       OpenCL C
    .language_version:
      - 2
      - 0
    .max_flat_workgroup_size: 1024
    .name:           _ZN4vllm18act_and_mul_kernelIN3c104HalfETnPFT_RKS3_EXadL_ZNS_11silu_kernelIS2_EES3_S5_EELb0EEEvPS3_PS4_i
    .private_segment_fixed_size: 0
    .sgpr_count:     31
    .sgpr_spill_count: 0
    .symbol:         _ZN4vllm18act_and_mul_kernelIN3c104HalfETnPFT_RKS3_EXadL_ZNS_11silu_kernelIS2_EES3_S5_EELb0EEEvPS3_PS4_i.kd
    .uniform_work_group_size: 1
    .uses_dynamic_stack: false
    .vgpr_count:     45
    .vgpr_spill_count: 0
    .wavefront_size: 64
  - .agpr_count:     0
    .args:
      - .actual_access:  write_only
        .address_space:  global
        .offset:         0
        .size:           8
        .value_kind:     global_buffer
      - .actual_access:  read_only
        .address_space:  global
        .offset:         8
        .size:           8
        .value_kind:     global_buffer
      - .offset:         16
        .size:           4
        .value_kind:     by_value
      - .offset:         24
        .size:           4
        .value_kind:     hidden_block_count_x
      - .offset:         28
        .size:           4
        .value_kind:     hidden_block_count_y
      - .offset:         32
        .size:           4
        .value_kind:     hidden_block_count_z
      - .offset:         36
        .size:           2
        .value_kind:     hidden_group_size_x
      - .offset:         38
        .size:           2
        .value_kind:     hidden_group_size_y
      - .offset:         40
        .size:           2
        .value_kind:     hidden_group_size_z
      - .offset:         42
        .size:           2
        .value_kind:     hidden_remainder_x
      - .offset:         44
        .size:           2
        .value_kind:     hidden_remainder_y
      - .offset:         46
        .size:           2
        .value_kind:     hidden_remainder_z
      - .offset:         64
        .size:           8
        .value_kind:     hidden_global_offset_x
      - .offset:         72
        .size:           8
        .value_kind:     hidden_global_offset_y
      - .offset:         80
        .size:           8
        .value_kind:     hidden_global_offset_z
      - .offset:         88
        .size:           2
        .value_kind:     hidden_grid_dims
    .group_segment_fixed_size: 0
    .kernarg_segment_align: 8
    .kernarg_segment_size: 280
    .language:       OpenCL C
    .language_version:
      - 2
      - 0
    .max_flat_workgroup_size: 1024
    .name:           _ZN4vllm18act_and_mul_kernelIN3c108BFloat16ETnPFT_RKS3_EXadL_ZNS_11silu_kernelIS2_EES3_S5_EELb0EEEvPS3_PS4_i
    .private_segment_fixed_size: 0
    .sgpr_count:     32
    .sgpr_spill_count: 0
    .symbol:         _ZN4vllm18act_and_mul_kernelIN3c108BFloat16ETnPFT_RKS3_EXadL_ZNS_11silu_kernelIS2_EES3_S5_EELb0EEEvPS3_PS4_i.kd
    .uniform_work_group_size: 1
    .uses_dynamic_stack: false
    .vgpr_count:     49
    .vgpr_spill_count: 0
    .wavefront_size: 64
  - .agpr_count:     0
    .args:
      - .actual_access:  write_only
        .address_space:  global
        .offset:         0
        .size:           8
        .value_kind:     global_buffer
      - .actual_access:  read_only
        .address_space:  global
        .offset:         8
        .size:           8
        .value_kind:     global_buffer
      - .offset:         16
        .size:           4
        .value_kind:     by_value
      - .offset:         24
        .size:           4
        .value_kind:     hidden_block_count_x
      - .offset:         28
        .size:           4
        .value_kind:     hidden_block_count_y
      - .offset:         32
        .size:           4
        .value_kind:     hidden_block_count_z
      - .offset:         36
        .size:           2
        .value_kind:     hidden_group_size_x
      - .offset:         38
        .size:           2
        .value_kind:     hidden_group_size_y
      - .offset:         40
        .size:           2
        .value_kind:     hidden_group_size_z
      - .offset:         42
        .size:           2
        .value_kind:     hidden_remainder_x
      - .offset:         44
        .size:           2
        .value_kind:     hidden_remainder_y
      - .offset:         46
        .size:           2
        .value_kind:     hidden_remainder_z
      - .offset:         64
        .size:           8
        .value_kind:     hidden_global_offset_x
      - .offset:         72
        .size:           8
        .value_kind:     hidden_global_offset_y
      - .offset:         80
        .size:           8
        .value_kind:     hidden_global_offset_z
      - .offset:         88
        .size:           2
        .value_kind:     hidden_grid_dims
    .group_segment_fixed_size: 0
    .kernarg_segment_align: 8
    .kernarg_segment_size: 280
    .language:       OpenCL C
    .language_version:
      - 2
      - 0
    .max_flat_workgroup_size: 1024
    .name:           _ZN4vllm18act_and_mul_kernelIfTnPFT_RKS1_EXadL_ZNS_11gelu_kernelIfEES1_S3_EELb1EEEvPS1_PS2_i
    .private_segment_fixed_size: 0
    .sgpr_count:     50
    .sgpr_spill_count: 0
    .symbol:         _ZN4vllm18act_and_mul_kernelIfTnPFT_RKS1_EXadL_ZNS_11gelu_kernelIfEES1_S3_EELb1EEEvPS1_PS2_i.kd
    .uniform_work_group_size: 1
    .uses_dynamic_stack: false
    .vgpr_count:     33
    .vgpr_spill_count: 0
    .wavefront_size: 64
  - .agpr_count:     0
    .args:
      - .actual_access:  write_only
        .address_space:  global
        .offset:         0
        .size:           8
        .value_kind:     global_buffer
      - .actual_access:  read_only
        .address_space:  global
        .offset:         8
        .size:           8
        .value_kind:     global_buffer
      - .offset:         16
        .size:           4
        .value_kind:     by_value
      - .offset:         24
        .size:           4
        .value_kind:     hidden_block_count_x
      - .offset:         28
        .size:           4
        .value_kind:     hidden_block_count_y
      - .offset:         32
        .size:           4
        .value_kind:     hidden_block_count_z
      - .offset:         36
        .size:           2
        .value_kind:     hidden_group_size_x
      - .offset:         38
        .size:           2
        .value_kind:     hidden_group_size_y
      - .offset:         40
        .size:           2
        .value_kind:     hidden_group_size_z
      - .offset:         42
        .size:           2
        .value_kind:     hidden_remainder_x
      - .offset:         44
        .size:           2
        .value_kind:     hidden_remainder_y
      - .offset:         46
        .size:           2
        .value_kind:     hidden_remainder_z
      - .offset:         64
        .size:           8
        .value_kind:     hidden_global_offset_x
      - .offset:         72
        .size:           8
        .value_kind:     hidden_global_offset_y
      - .offset:         80
        .size:           8
        .value_kind:     hidden_global_offset_z
      - .offset:         88
        .size:           2
        .value_kind:     hidden_grid_dims
    .group_segment_fixed_size: 0
    .kernarg_segment_align: 8
    .kernarg_segment_size: 280
    .language:       OpenCL C
    .language_version:
      - 2
      - 0
    .max_flat_workgroup_size: 1024
    .name:           _ZN4vllm18act_and_mul_kernelIN3c104HalfETnPFT_RKS3_EXadL_ZNS_11gelu_kernelIS2_EES3_S5_EELb1EEEvPS3_PS4_i
    .private_segment_fixed_size: 0
    .sgpr_count:     54
    .sgpr_spill_count: 0
    .symbol:         _ZN4vllm18act_and_mul_kernelIN3c104HalfETnPFT_RKS3_EXadL_ZNS_11gelu_kernelIS2_EES3_S5_EELb1EEEvPS3_PS4_i.kd
    .uniform_work_group_size: 1
    .uses_dynamic_stack: false
    .vgpr_count:     49
    .vgpr_spill_count: 0
    .wavefront_size: 64
  - .agpr_count:     0
    .args:
      - .actual_access:  write_only
        .address_space:  global
        .offset:         0
        .size:           8
        .value_kind:     global_buffer
      - .actual_access:  read_only
        .address_space:  global
        .offset:         8
        .size:           8
        .value_kind:     global_buffer
      - .offset:         16
        .size:           4
        .value_kind:     by_value
      - .offset:         24
        .size:           4
        .value_kind:     hidden_block_count_x
      - .offset:         28
        .size:           4
        .value_kind:     hidden_block_count_y
      - .offset:         32
        .size:           4
        .value_kind:     hidden_block_count_z
      - .offset:         36
        .size:           2
        .value_kind:     hidden_group_size_x
      - .offset:         38
        .size:           2
        .value_kind:     hidden_group_size_y
      - .offset:         40
        .size:           2
        .value_kind:     hidden_group_size_z
      - .offset:         42
        .size:           2
        .value_kind:     hidden_remainder_x
      - .offset:         44
        .size:           2
        .value_kind:     hidden_remainder_y
      - .offset:         46
        .size:           2
        .value_kind:     hidden_remainder_z
      - .offset:         64
        .size:           8
        .value_kind:     hidden_global_offset_x
      - .offset:         72
        .size:           8
        .value_kind:     hidden_global_offset_y
      - .offset:         80
        .size:           8
        .value_kind:     hidden_global_offset_z
      - .offset:         88
        .size:           2
        .value_kind:     hidden_grid_dims
    .group_segment_fixed_size: 0
    .kernarg_segment_align: 8
    .kernarg_segment_size: 280
    .language:       OpenCL C
    .language_version:
      - 2
      - 0
    .max_flat_workgroup_size: 1024
    .name:           _ZN4vllm18act_and_mul_kernelIN3c108BFloat16ETnPFT_RKS3_EXadL_ZNS_11gelu_kernelIS2_EES3_S5_EELb1EEEvPS3_PS4_i
    .private_segment_fixed_size: 0
    .sgpr_count:     54
    .sgpr_spill_count: 0
    .symbol:         _ZN4vllm18act_and_mul_kernelIN3c108BFloat16ETnPFT_RKS3_EXadL_ZNS_11gelu_kernelIS2_EES3_S5_EELb1EEEvPS3_PS4_i.kd
    .uniform_work_group_size: 1
    .uses_dynamic_stack: false
    .vgpr_count:     53
    .vgpr_spill_count: 0
    .wavefront_size: 64
  - .agpr_count:     0
    .args:
      - .actual_access:  write_only
        .address_space:  global
        .offset:         0
        .size:           8
        .value_kind:     global_buffer
      - .actual_access:  read_only
        .address_space:  global
        .offset:         8
        .size:           8
        .value_kind:     global_buffer
      - .offset:         16
        .size:           4
        .value_kind:     by_value
      - .offset:         24
        .size:           4
        .value_kind:     hidden_block_count_x
      - .offset:         28
        .size:           4
        .value_kind:     hidden_block_count_y
      - .offset:         32
        .size:           4
        .value_kind:     hidden_block_count_z
      - .offset:         36
        .size:           2
        .value_kind:     hidden_group_size_x
      - .offset:         38
        .size:           2
        .value_kind:     hidden_group_size_y
      - .offset:         40
        .size:           2
        .value_kind:     hidden_group_size_z
      - .offset:         42
        .size:           2
        .value_kind:     hidden_remainder_x
      - .offset:         44
        .size:           2
        .value_kind:     hidden_remainder_y
      - .offset:         46
        .size:           2
        .value_kind:     hidden_remainder_z
      - .offset:         64
        .size:           8
        .value_kind:     hidden_global_offset_x
      - .offset:         72
        .size:           8
        .value_kind:     hidden_global_offset_y
      - .offset:         80
        .size:           8
        .value_kind:     hidden_global_offset_z
      - .offset:         88
        .size:           2
        .value_kind:     hidden_grid_dims
    .group_segment_fixed_size: 0
    .kernarg_segment_align: 8
    .kernarg_segment_size: 280
    .language:       OpenCL C
    .language_version:
      - 2
      - 0
    .max_flat_workgroup_size: 1024
    .name:           _ZN4vllm18act_and_mul_kernelIfTnPFT_RKS1_EXadL_ZNS_16gelu_tanh_kernelIfEES1_S3_EELb1EEEvPS1_PS2_i
    .private_segment_fixed_size: 0
    .sgpr_count:     30
    .sgpr_spill_count: 0
    .symbol:         _ZN4vllm18act_and_mul_kernelIfTnPFT_RKS1_EXadL_ZNS_16gelu_tanh_kernelIfEES1_S3_EELb1EEEvPS1_PS2_i.kd
    .uniform_work_group_size: 1
    .uses_dynamic_stack: false
    .vgpr_count:     13
    .vgpr_spill_count: 0
    .wavefront_size: 64
  - .agpr_count:     0
    .args:
      - .actual_access:  write_only
        .address_space:  global
        .offset:         0
        .size:           8
        .value_kind:     global_buffer
      - .actual_access:  read_only
        .address_space:  global
        .offset:         8
        .size:           8
        .value_kind:     global_buffer
      - .offset:         16
        .size:           4
        .value_kind:     by_value
      - .offset:         24
        .size:           4
        .value_kind:     hidden_block_count_x
      - .offset:         28
        .size:           4
        .value_kind:     hidden_block_count_y
      - .offset:         32
        .size:           4
        .value_kind:     hidden_block_count_z
      - .offset:         36
        .size:           2
        .value_kind:     hidden_group_size_x
      - .offset:         38
        .size:           2
        .value_kind:     hidden_group_size_y
      - .offset:         40
        .size:           2
        .value_kind:     hidden_group_size_z
      - .offset:         42
        .size:           2
        .value_kind:     hidden_remainder_x
      - .offset:         44
        .size:           2
        .value_kind:     hidden_remainder_y
      - .offset:         46
        .size:           2
        .value_kind:     hidden_remainder_z
      - .offset:         64
        .size:           8
        .value_kind:     hidden_global_offset_x
      - .offset:         72
        .size:           8
        .value_kind:     hidden_global_offset_y
      - .offset:         80
        .size:           8
        .value_kind:     hidden_global_offset_z
      - .offset:         88
        .size:           2
        .value_kind:     hidden_grid_dims
    .group_segment_fixed_size: 0
    .kernarg_segment_align: 8
    .kernarg_segment_size: 280
    .language:       OpenCL C
    .language_version:
      - 2
      - 0
    .max_flat_workgroup_size: 1024
    .name:           _ZN4vllm18act_and_mul_kernelIN3c104HalfETnPFT_RKS3_EXadL_ZNS_16gelu_tanh_kernelIS2_EES3_S5_EELb1EEEvPS3_PS4_i
    .private_segment_fixed_size: 0
    .sgpr_count:     30
    .sgpr_spill_count: 0
    .symbol:         _ZN4vllm18act_and_mul_kernelIN3c104HalfETnPFT_RKS3_EXadL_ZNS_16gelu_tanh_kernelIS2_EES3_S5_EELb1EEEvPS3_PS4_i.kd
    .uniform_work_group_size: 1
    .uses_dynamic_stack: false
    .vgpr_count:     13
    .vgpr_spill_count: 0
    .wavefront_size: 64
  - .agpr_count:     0
    .args:
      - .actual_access:  write_only
        .address_space:  global
        .offset:         0
        .size:           8
        .value_kind:     global_buffer
      - .actual_access:  read_only
        .address_space:  global
        .offset:         8
        .size:           8
        .value_kind:     global_buffer
      - .offset:         16
        .size:           4
        .value_kind:     by_value
      - .offset:         24
        .size:           4
        .value_kind:     hidden_block_count_x
      - .offset:         28
        .size:           4
        .value_kind:     hidden_block_count_y
      - .offset:         32
        .size:           4
        .value_kind:     hidden_block_count_z
      - .offset:         36
        .size:           2
        .value_kind:     hidden_group_size_x
      - .offset:         38
        .size:           2
        .value_kind:     hidden_group_size_y
      - .offset:         40
        .size:           2
        .value_kind:     hidden_group_size_z
      - .offset:         42
        .size:           2
        .value_kind:     hidden_remainder_x
      - .offset:         44
        .size:           2
        .value_kind:     hidden_remainder_y
      - .offset:         46
        .size:           2
        .value_kind:     hidden_remainder_z
      - .offset:         64
        .size:           8
        .value_kind:     hidden_global_offset_x
      - .offset:         72
        .size:           8
        .value_kind:     hidden_global_offset_y
      - .offset:         80
        .size:           8
        .value_kind:     hidden_global_offset_z
      - .offset:         88
        .size:           2
        .value_kind:     hidden_grid_dims
    .group_segment_fixed_size: 0
    .kernarg_segment_align: 8
    .kernarg_segment_size: 280
    .language:       OpenCL C
    .language_version:
      - 2
      - 0
    .max_flat_workgroup_size: 1024
    .name:           _ZN4vllm18act_and_mul_kernelIN3c108BFloat16ETnPFT_RKS3_EXadL_ZNS_16gelu_tanh_kernelIS2_EES3_S5_EELb1EEEvPS3_PS4_i
    .private_segment_fixed_size: 0
    .sgpr_count:     30
    .sgpr_spill_count: 0
    .symbol:         _ZN4vllm18act_and_mul_kernelIN3c108BFloat16ETnPFT_RKS3_EXadL_ZNS_16gelu_tanh_kernelIS2_EES3_S5_EELb1EEEvPS3_PS4_i.kd
    .uniform_work_group_size: 1
    .uses_dynamic_stack: false
    .vgpr_count:     15
    .vgpr_spill_count: 0
    .wavefront_size: 64
  - .agpr_count:     0
    .args:
      - .actual_access:  write_only
        .address_space:  global
        .offset:         0
        .size:           8
        .value_kind:     global_buffer
      - .actual_access:  read_only
        .address_space:  global
        .offset:         8
        .size:           8
        .value_kind:     global_buffer
      - .offset:         16
        .size:           4
        .value_kind:     by_value
      - .offset:         20
        .size:           4
        .value_kind:     by_value
      - .offset:         24
        .size:           4
        .value_kind:     hidden_block_count_x
      - .offset:         28
        .size:           4
        .value_kind:     hidden_block_count_y
      - .offset:         32
        .size:           4
        .value_kind:     hidden_block_count_z
      - .offset:         36
        .size:           2
        .value_kind:     hidden_group_size_x
      - .offset:         38
        .size:           2
        .value_kind:     hidden_group_size_y
      - .offset:         40
        .size:           2
        .value_kind:     hidden_group_size_z
      - .offset:         42
        .size:           2
        .value_kind:     hidden_remainder_x
      - .offset:         44
        .size:           2
        .value_kind:     hidden_remainder_y
      - .offset:         46
        .size:           2
        .value_kind:     hidden_remainder_z
      - .offset:         64
        .size:           8
        .value_kind:     hidden_global_offset_x
      - .offset:         72
        .size:           8
        .value_kind:     hidden_global_offset_y
      - .offset:         80
        .size:           8
        .value_kind:     hidden_global_offset_z
      - .offset:         88
        .size:           2
        .value_kind:     hidden_grid_dims
    .group_segment_fixed_size: 0
    .kernarg_segment_align: 8
    .kernarg_segment_size: 280
    .language:       OpenCL C
    .language_version:
      - 2
      - 0
    .max_flat_workgroup_size: 1024
    .name:           _ZN4vllm29act_and_mul_kernel_with_paramIfTnPFT_RKS1_fEXadL_ZNS_14fatrelu_kernelIfEES1_S3_fEEEEvPS1_PS2_if
    .private_segment_fixed_size: 0
    .sgpr_count:     28
    .sgpr_spill_count: 0
    .symbol:         _ZN4vllm29act_and_mul_kernel_with_paramIfTnPFT_RKS1_fEXadL_ZNS_14fatrelu_kernelIfEES1_S3_fEEEEvPS1_PS2_if.kd
    .uniform_work_group_size: 1
    .uses_dynamic_stack: false
    .vgpr_count:     18
    .vgpr_spill_count: 0
    .wavefront_size: 64
  - .agpr_count:     0
    .args:
      - .actual_access:  write_only
        .address_space:  global
        .offset:         0
        .size:           8
        .value_kind:     global_buffer
      - .actual_access:  read_only
        .address_space:  global
        .offset:         8
        .size:           8
        .value_kind:     global_buffer
      - .offset:         16
        .size:           4
        .value_kind:     by_value
      - .offset:         20
        .size:           4
        .value_kind:     by_value
      - .offset:         24
        .size:           4
        .value_kind:     hidden_block_count_x
      - .offset:         28
        .size:           4
        .value_kind:     hidden_block_count_y
      - .offset:         32
        .size:           4
        .value_kind:     hidden_block_count_z
      - .offset:         36
        .size:           2
        .value_kind:     hidden_group_size_x
      - .offset:         38
        .size:           2
        .value_kind:     hidden_group_size_y
      - .offset:         40
        .size:           2
        .value_kind:     hidden_group_size_z
      - .offset:         42
        .size:           2
        .value_kind:     hidden_remainder_x
      - .offset:         44
        .size:           2
        .value_kind:     hidden_remainder_y
      - .offset:         46
        .size:           2
        .value_kind:     hidden_remainder_z
      - .offset:         64
        .size:           8
        .value_kind:     hidden_global_offset_x
      - .offset:         72
        .size:           8
        .value_kind:     hidden_global_offset_y
      - .offset:         80
        .size:           8
        .value_kind:     hidden_global_offset_z
      - .offset:         88
        .size:           2
        .value_kind:     hidden_grid_dims
    .group_segment_fixed_size: 0
    .kernarg_segment_align: 8
    .kernarg_segment_size: 280
    .language:       OpenCL C
    .language_version:
      - 2
      - 0
    .max_flat_workgroup_size: 1024
    .name:           _ZN4vllm29act_and_mul_kernel_with_paramIN3c104HalfETnPFT_RKS3_fEXadL_ZNS_14fatrelu_kernelIS2_EES3_S5_fEEEEvPS3_PS4_if
    .private_segment_fixed_size: 0
    .sgpr_count:     28
    .sgpr_spill_count: 0
    .symbol:         _ZN4vllm29act_and_mul_kernel_with_paramIN3c104HalfETnPFT_RKS3_fEXadL_ZNS_14fatrelu_kernelIS2_EES3_S5_fEEEEvPS3_PS4_if.kd
    .uniform_work_group_size: 1
    .uses_dynamic_stack: false
    .vgpr_count:     24
    .vgpr_spill_count: 0
    .wavefront_size: 64
  - .agpr_count:     0
    .args:
      - .actual_access:  write_only
        .address_space:  global
        .offset:         0
        .size:           8
        .value_kind:     global_buffer
      - .actual_access:  read_only
        .address_space:  global
        .offset:         8
        .size:           8
        .value_kind:     global_buffer
      - .offset:         16
        .size:           4
        .value_kind:     by_value
      - .offset:         20
        .size:           4
        .value_kind:     by_value
      - .offset:         24
        .size:           4
        .value_kind:     hidden_block_count_x
      - .offset:         28
        .size:           4
        .value_kind:     hidden_block_count_y
      - .offset:         32
        .size:           4
        .value_kind:     hidden_block_count_z
      - .offset:         36
        .size:           2
        .value_kind:     hidden_group_size_x
      - .offset:         38
        .size:           2
        .value_kind:     hidden_group_size_y
      - .offset:         40
        .size:           2
        .value_kind:     hidden_group_size_z
      - .offset:         42
        .size:           2
        .value_kind:     hidden_remainder_x
      - .offset:         44
        .size:           2
        .value_kind:     hidden_remainder_y
      - .offset:         46
        .size:           2
        .value_kind:     hidden_remainder_z
      - .offset:         64
        .size:           8
        .value_kind:     hidden_global_offset_x
      - .offset:         72
        .size:           8
        .value_kind:     hidden_global_offset_y
      - .offset:         80
        .size:           8
        .value_kind:     hidden_global_offset_z
      - .offset:         88
        .size:           2
        .value_kind:     hidden_grid_dims
    .group_segment_fixed_size: 0
    .kernarg_segment_align: 8
    .kernarg_segment_size: 280
    .language:       OpenCL C
    .language_version:
      - 2
      - 0
    .max_flat_workgroup_size: 1024
    .name:           _ZN4vllm29act_and_mul_kernel_with_paramIN3c108BFloat16ETnPFT_RKS3_fEXadL_ZNS_14fatrelu_kernelIS2_EES3_S5_fEEEEvPS3_PS4_if
    .private_segment_fixed_size: 0
    .sgpr_count:     33
    .sgpr_spill_count: 0
    .symbol:         _ZN4vllm29act_and_mul_kernel_with_paramIN3c108BFloat16ETnPFT_RKS3_fEXadL_ZNS_14fatrelu_kernelIS2_EES3_S5_fEEEEvPS3_PS4_if.kd
    .uniform_work_group_size: 1
    .uses_dynamic_stack: false
    .vgpr_count:     28
    .vgpr_spill_count: 0
    .wavefront_size: 64
  - .agpr_count:     0
    .args:
      - .actual_access:  write_only
        .address_space:  global
        .offset:         0
        .size:           8
        .value_kind:     global_buffer
      - .actual_access:  read_only
        .address_space:  global
        .offset:         8
        .size:           8
        .value_kind:     global_buffer
      - .offset:         16
        .size:           4
        .value_kind:     by_value
      - .offset:         20
        .size:           4
        .value_kind:     by_value
      - .offset:         24
        .size:           4
        .value_kind:     by_value
      - .offset:         32
        .size:           4
        .value_kind:     hidden_block_count_x
      - .offset:         36
        .size:           4
        .value_kind:     hidden_block_count_y
      - .offset:         40
        .size:           4
        .value_kind:     hidden_block_count_z
      - .offset:         44
        .size:           2
        .value_kind:     hidden_group_size_x
      - .offset:         46
        .size:           2
        .value_kind:     hidden_group_size_y
      - .offset:         48
        .size:           2
        .value_kind:     hidden_group_size_z
      - .offset:         50
        .size:           2
        .value_kind:     hidden_remainder_x
      - .offset:         52
        .size:           2
        .value_kind:     hidden_remainder_y
      - .offset:         54
        .size:           2
        .value_kind:     hidden_remainder_z
      - .offset:         72
        .size:           8
        .value_kind:     hidden_global_offset_x
      - .offset:         80
        .size:           8
        .value_kind:     hidden_global_offset_y
      - .offset:         88
        .size:           8
        .value_kind:     hidden_global_offset_z
      - .offset:         96
        .size:           2
        .value_kind:     hidden_grid_dims
    .group_segment_fixed_size: 0
    .kernarg_segment_align: 8
    .kernarg_segment_size: 288
    .language:       OpenCL C
    .language_version:
      - 2
      - 0
    .max_flat_workgroup_size: 1024
    .name:           _ZN4vllm24swigluoai_and_mul_kernelIfTnPFT_RKS1_S3_ffEXadL_ZNS_17swigluoai_and_mulIfEES1_S3_S3_ffEEEEvPS1_PS2_iff
    .private_segment_fixed_size: 0
    .sgpr_count:     34
    .sgpr_spill_count: 0
    .symbol:         _ZN4vllm24swigluoai_and_mul_kernelIfTnPFT_RKS1_S3_ffEXadL_ZNS_17swigluoai_and_mulIfEES1_S3_S3_ffEEEEvPS1_PS2_iff.kd
    .uniform_work_group_size: 1
    .uses_dynamic_stack: false
    .vgpr_count:     35
    .vgpr_spill_count: 0
    .wavefront_size: 64
  - .agpr_count:     0
    .args:
      - .actual_access:  write_only
        .address_space:  global
        .offset:         0
        .size:           8
        .value_kind:     global_buffer
      - .actual_access:  read_only
        .address_space:  global
        .offset:         8
        .size:           8
        .value_kind:     global_buffer
      - .offset:         16
        .size:           4
        .value_kind:     by_value
      - .offset:         20
        .size:           4
        .value_kind:     by_value
      - .offset:         24
        .size:           4
        .value_kind:     by_value
      - .offset:         32
        .size:           4
        .value_kind:     hidden_block_count_x
      - .offset:         36
        .size:           4
        .value_kind:     hidden_block_count_y
      - .offset:         40
        .size:           4
        .value_kind:     hidden_block_count_z
      - .offset:         44
        .size:           2
        .value_kind:     hidden_group_size_x
      - .offset:         46
        .size:           2
        .value_kind:     hidden_group_size_y
      - .offset:         48
        .size:           2
        .value_kind:     hidden_group_size_z
      - .offset:         50
        .size:           2
        .value_kind:     hidden_remainder_x
      - .offset:         52
        .size:           2
        .value_kind:     hidden_remainder_y
      - .offset:         54
        .size:           2
        .value_kind:     hidden_remainder_z
      - .offset:         72
        .size:           8
        .value_kind:     hidden_global_offset_x
      - .offset:         80
        .size:           8
        .value_kind:     hidden_global_offset_y
      - .offset:         88
        .size:           8
        .value_kind:     hidden_global_offset_z
      - .offset:         96
        .size:           2
        .value_kind:     hidden_grid_dims
    .group_segment_fixed_size: 0
    .kernarg_segment_align: 8
    .kernarg_segment_size: 288
    .language:       OpenCL C
    .language_version:
      - 2
      - 0
    .max_flat_workgroup_size: 1024
    .name:           _ZN4vllm24swigluoai_and_mul_kernelIN3c104HalfETnPFT_RKS3_S5_ffEXadL_ZNS_17swigluoai_and_mulIS2_EES3_S5_S5_ffEEEEvPS3_PS4_iff
    .private_segment_fixed_size: 0
    .sgpr_count:     49
    .sgpr_spill_count: 0
    .symbol:         _ZN4vllm24swigluoai_and_mul_kernelIN3c104HalfETnPFT_RKS3_S5_ffEXadL_ZNS_17swigluoai_and_mulIS2_EES3_S5_S5_ffEEEEvPS3_PS4_iff.kd
    .uniform_work_group_size: 1
    .uses_dynamic_stack: false
    .vgpr_count:     59
    .vgpr_spill_count: 0
    .wavefront_size: 64
  - .agpr_count:     0
    .args:
      - .actual_access:  write_only
        .address_space:  global
        .offset:         0
        .size:           8
        .value_kind:     global_buffer
      - .actual_access:  read_only
        .address_space:  global
        .offset:         8
        .size:           8
        .value_kind:     global_buffer
      - .offset:         16
        .size:           4
        .value_kind:     by_value
      - .offset:         20
        .size:           4
        .value_kind:     by_value
      - .offset:         24
        .size:           4
        .value_kind:     by_value
      - .offset:         32
        .size:           4
        .value_kind:     hidden_block_count_x
      - .offset:         36
        .size:           4
        .value_kind:     hidden_block_count_y
      - .offset:         40
        .size:           4
        .value_kind:     hidden_block_count_z
      - .offset:         44
        .size:           2
        .value_kind:     hidden_group_size_x
      - .offset:         46
        .size:           2
        .value_kind:     hidden_group_size_y
      - .offset:         48
        .size:           2
        .value_kind:     hidden_group_size_z
      - .offset:         50
        .size:           2
        .value_kind:     hidden_remainder_x
      - .offset:         52
        .size:           2
        .value_kind:     hidden_remainder_y
      - .offset:         54
        .size:           2
        .value_kind:     hidden_remainder_z
      - .offset:         72
        .size:           8
        .value_kind:     hidden_global_offset_x
      - .offset:         80
        .size:           8
        .value_kind:     hidden_global_offset_y
      - .offset:         88
        .size:           8
        .value_kind:     hidden_global_offset_z
      - .offset:         96
        .size:           2
        .value_kind:     hidden_grid_dims
    .group_segment_fixed_size: 0
    .kernarg_segment_align: 8
    .kernarg_segment_size: 288
    .language:       OpenCL C
    .language_version:
      - 2
      - 0
    .max_flat_workgroup_size: 1024
    .name:           _ZN4vllm24swigluoai_and_mul_kernelIN3c108BFloat16ETnPFT_RKS3_S5_ffEXadL_ZNS_17swigluoai_and_mulIS2_EES3_S5_S5_ffEEEEvPS3_PS4_iff
    .private_segment_fixed_size: 0
    .sgpr_count:     49
    .sgpr_spill_count: 0
    .symbol:         _ZN4vllm24swigluoai_and_mul_kernelIN3c108BFloat16ETnPFT_RKS3_S5_ffEXadL_ZNS_17swigluoai_and_mulIS2_EES3_S5_S5_ffEEEEvPS3_PS4_iff.kd
    .uniform_work_group_size: 1
    .uses_dynamic_stack: false
    .vgpr_count:     60
    .vgpr_spill_count: 0
    .wavefront_size: 64
  - .agpr_count:     0
    .args:
      - .actual_access:  write_only
        .address_space:  global
        .offset:         0
        .size:           8
        .value_kind:     global_buffer
      - .actual_access:  read_only
        .address_space:  global
        .offset:         8
        .size:           8
        .value_kind:     global_buffer
      - .offset:         16
        .size:           4
        .value_kind:     by_value
      - .offset:         24
        .size:           4
        .value_kind:     hidden_block_count_x
      - .offset:         28
        .size:           4
        .value_kind:     hidden_block_count_y
      - .offset:         32
        .size:           4
        .value_kind:     hidden_block_count_z
      - .offset:         36
        .size:           2
        .value_kind:     hidden_group_size_x
      - .offset:         38
        .size:           2
        .value_kind:     hidden_group_size_y
      - .offset:         40
        .size:           2
        .value_kind:     hidden_group_size_z
      - .offset:         42
        .size:           2
        .value_kind:     hidden_remainder_x
      - .offset:         44
        .size:           2
        .value_kind:     hidden_remainder_y
      - .offset:         46
        .size:           2
        .value_kind:     hidden_remainder_z
      - .offset:         64
        .size:           8
        .value_kind:     hidden_global_offset_x
      - .offset:         72
        .size:           8
        .value_kind:     hidden_global_offset_y
      - .offset:         80
        .size:           8
        .value_kind:     hidden_global_offset_z
      - .offset:         88
        .size:           2
        .value_kind:     hidden_grid_dims
    .group_segment_fixed_size: 0
    .kernarg_segment_align: 8
    .kernarg_segment_size: 280
    .language:       OpenCL C
    .language_version:
      - 2
      - 0
    .max_flat_workgroup_size: 1024
    .name:           _ZN4vllm17activation_kernelIfTnPFT_RKS1_EXadL_ZNS_15gelu_new_kernelIfEES1_S3_EEEEvPS1_PS2_i
    .private_segment_fixed_size: 0
    .sgpr_count:     28
    .sgpr_spill_count: 0
    .symbol:         _ZN4vllm17activation_kernelIfTnPFT_RKS1_EXadL_ZNS_15gelu_new_kernelIfEES1_S3_EEEEvPS1_PS2_i.kd
    .uniform_work_group_size: 1
    .uses_dynamic_stack: false
    .vgpr_count:     12
    .vgpr_spill_count: 0
    .wavefront_size: 64
  - .agpr_count:     0
    .args:
      - .actual_access:  write_only
        .address_space:  global
        .offset:         0
        .size:           8
        .value_kind:     global_buffer
      - .actual_access:  read_only
        .address_space:  global
        .offset:         8
        .size:           8
        .value_kind:     global_buffer
      - .offset:         16
        .size:           4
        .value_kind:     by_value
      - .offset:         24
        .size:           4
        .value_kind:     hidden_block_count_x
      - .offset:         28
        .size:           4
        .value_kind:     hidden_block_count_y
      - .offset:         32
        .size:           4
        .value_kind:     hidden_block_count_z
      - .offset:         36
        .size:           2
        .value_kind:     hidden_group_size_x
      - .offset:         38
        .size:           2
        .value_kind:     hidden_group_size_y
      - .offset:         40
        .size:           2
        .value_kind:     hidden_group_size_z
      - .offset:         42
        .size:           2
        .value_kind:     hidden_remainder_x
      - .offset:         44
        .size:           2
        .value_kind:     hidden_remainder_y
      - .offset:         46
        .size:           2
        .value_kind:     hidden_remainder_z
      - .offset:         64
        .size:           8
        .value_kind:     hidden_global_offset_x
      - .offset:         72
        .size:           8
        .value_kind:     hidden_global_offset_y
      - .offset:         80
        .size:           8
        .value_kind:     hidden_global_offset_z
      - .offset:         88
        .size:           2
        .value_kind:     hidden_grid_dims
    .group_segment_fixed_size: 0
    .kernarg_segment_align: 8
    .kernarg_segment_size: 280
    .language:       OpenCL C
    .language_version:
      - 2
      - 0
    .max_flat_workgroup_size: 1024
    .name:           _ZN4vllm17activation_kernelIN3c104HalfETnPFT_RKS3_EXadL_ZNS_15gelu_new_kernelIS2_EES3_S5_EEEEvPS3_PS4_i
    .private_segment_fixed_size: 0
    .sgpr_count:     30
    .sgpr_spill_count: 0
    .symbol:         _ZN4vllm17activation_kernelIN3c104HalfETnPFT_RKS3_EXadL_ZNS_15gelu_new_kernelIS2_EES3_S5_EEEEvPS3_PS4_i.kd
    .uniform_work_group_size: 1
    .uses_dynamic_stack: false
    .vgpr_count:     12
    .vgpr_spill_count: 0
    .wavefront_size: 64
  - .agpr_count:     0
    .args:
      - .actual_access:  write_only
        .address_space:  global
        .offset:         0
        .size:           8
        .value_kind:     global_buffer
      - .actual_access:  read_only
        .address_space:  global
        .offset:         8
        .size:           8
        .value_kind:     global_buffer
      - .offset:         16
        .size:           4
        .value_kind:     by_value
      - .offset:         24
        .size:           4
        .value_kind:     hidden_block_count_x
      - .offset:         28
        .size:           4
        .value_kind:     hidden_block_count_y
      - .offset:         32
        .size:           4
        .value_kind:     hidden_block_count_z
      - .offset:         36
        .size:           2
        .value_kind:     hidden_group_size_x
      - .offset:         38
        .size:           2
        .value_kind:     hidden_group_size_y
      - .offset:         40
        .size:           2
        .value_kind:     hidden_group_size_z
      - .offset:         42
        .size:           2
        .value_kind:     hidden_remainder_x
      - .offset:         44
        .size:           2
        .value_kind:     hidden_remainder_y
      - .offset:         46
        .size:           2
        .value_kind:     hidden_remainder_z
      - .offset:         64
        .size:           8
        .value_kind:     hidden_global_offset_x
      - .offset:         72
        .size:           8
        .value_kind:     hidden_global_offset_y
      - .offset:         80
        .size:           8
        .value_kind:     hidden_global_offset_z
      - .offset:         88
        .size:           2
        .value_kind:     hidden_grid_dims
    .group_segment_fixed_size: 0
    .kernarg_segment_align: 8
    .kernarg_segment_size: 280
    .language:       OpenCL C
    .language_version:
      - 2
      - 0
    .max_flat_workgroup_size: 1024
    .name:           _ZN4vllm17activation_kernelIN3c108BFloat16ETnPFT_RKS3_EXadL_ZNS_15gelu_new_kernelIS2_EES3_S5_EEEEvPS3_PS4_i
    .private_segment_fixed_size: 0
    .sgpr_count:     28
    .sgpr_spill_count: 0
    .symbol:         _ZN4vllm17activation_kernelIN3c108BFloat16ETnPFT_RKS3_EXadL_ZNS_15gelu_new_kernelIS2_EES3_S5_EEEEvPS3_PS4_i.kd
    .uniform_work_group_size: 1
    .uses_dynamic_stack: false
    .vgpr_count:     15
    .vgpr_spill_count: 0
    .wavefront_size: 64
  - .agpr_count:     0
    .args:
      - .actual_access:  write_only
        .address_space:  global
        .offset:         0
        .size:           8
        .value_kind:     global_buffer
      - .actual_access:  read_only
        .address_space:  global
        .offset:         8
        .size:           8
        .value_kind:     global_buffer
      - .offset:         16
        .size:           4
        .value_kind:     by_value
      - .offset:         24
        .size:           4
        .value_kind:     hidden_block_count_x
      - .offset:         28
        .size:           4
        .value_kind:     hidden_block_count_y
      - .offset:         32
        .size:           4
        .value_kind:     hidden_block_count_z
      - .offset:         36
        .size:           2
        .value_kind:     hidden_group_size_x
      - .offset:         38
        .size:           2
        .value_kind:     hidden_group_size_y
      - .offset:         40
        .size:           2
        .value_kind:     hidden_group_size_z
      - .offset:         42
        .size:           2
        .value_kind:     hidden_remainder_x
      - .offset:         44
        .size:           2
        .value_kind:     hidden_remainder_y
      - .offset:         46
        .size:           2
        .value_kind:     hidden_remainder_z
      - .offset:         64
        .size:           8
        .value_kind:     hidden_global_offset_x
      - .offset:         72
        .size:           8
        .value_kind:     hidden_global_offset_y
      - .offset:         80
        .size:           8
        .value_kind:     hidden_global_offset_z
      - .offset:         88
        .size:           2
        .value_kind:     hidden_grid_dims
    .group_segment_fixed_size: 0
    .kernarg_segment_align: 8
    .kernarg_segment_size: 280
    .language:       OpenCL C
    .language_version:
      - 2
      - 0
    .max_flat_workgroup_size: 1024
    .name:           _ZN4vllm17activation_kernelIfTnPFT_RKS1_EXadL_ZNS_16gelu_fast_kernelIfEES1_S3_EEEEvPS1_PS2_i
    .private_segment_fixed_size: 0
    .sgpr_count:     28
    .sgpr_spill_count: 0
    .symbol:         _ZN4vllm17activation_kernelIfTnPFT_RKS1_EXadL_ZNS_16gelu_fast_kernelIfEES1_S3_EEEEvPS1_PS2_i.kd
    .uniform_work_group_size: 1
    .uses_dynamic_stack: false
    .vgpr_count:     12
    .vgpr_spill_count: 0
    .wavefront_size: 64
  - .agpr_count:     0
    .args:
      - .actual_access:  write_only
        .address_space:  global
        .offset:         0
        .size:           8
        .value_kind:     global_buffer
      - .actual_access:  read_only
        .address_space:  global
        .offset:         8
        .size:           8
        .value_kind:     global_buffer
      - .offset:         16
        .size:           4
        .value_kind:     by_value
      - .offset:         24
        .size:           4
        .value_kind:     hidden_block_count_x
      - .offset:         28
        .size:           4
        .value_kind:     hidden_block_count_y
      - .offset:         32
        .size:           4
        .value_kind:     hidden_block_count_z
      - .offset:         36
        .size:           2
        .value_kind:     hidden_group_size_x
      - .offset:         38
        .size:           2
        .value_kind:     hidden_group_size_y
      - .offset:         40
        .size:           2
        .value_kind:     hidden_group_size_z
      - .offset:         42
        .size:           2
        .value_kind:     hidden_remainder_x
      - .offset:         44
        .size:           2
        .value_kind:     hidden_remainder_y
      - .offset:         46
        .size:           2
        .value_kind:     hidden_remainder_z
      - .offset:         64
        .size:           8
        .value_kind:     hidden_global_offset_x
      - .offset:         72
        .size:           8
        .value_kind:     hidden_global_offset_y
      - .offset:         80
        .size:           8
        .value_kind:     hidden_global_offset_z
      - .offset:         88
        .size:           2
        .value_kind:     hidden_grid_dims
    .group_segment_fixed_size: 0
    .kernarg_segment_align: 8
    .kernarg_segment_size: 280
    .language:       OpenCL C
    .language_version:
      - 2
      - 0
    .max_flat_workgroup_size: 1024
    .name:           _ZN4vllm17activation_kernelIN3c104HalfETnPFT_RKS3_EXadL_ZNS_16gelu_fast_kernelIS2_EES3_S5_EEEEvPS3_PS4_i
    .private_segment_fixed_size: 0
    .sgpr_count:     30
    .sgpr_spill_count: 0
    .symbol:         _ZN4vllm17activation_kernelIN3c104HalfETnPFT_RKS3_EXadL_ZNS_16gelu_fast_kernelIS2_EES3_S5_EEEEvPS3_PS4_i.kd
    .uniform_work_group_size: 1
    .uses_dynamic_stack: false
    .vgpr_count:     12
    .vgpr_spill_count: 0
    .wavefront_size: 64
  - .agpr_count:     0
    .args:
      - .actual_access:  write_only
        .address_space:  global
        .offset:         0
        .size:           8
        .value_kind:     global_buffer
      - .actual_access:  read_only
        .address_space:  global
        .offset:         8
        .size:           8
        .value_kind:     global_buffer
      - .offset:         16
        .size:           4
        .value_kind:     by_value
      - .offset:         24
        .size:           4
        .value_kind:     hidden_block_count_x
      - .offset:         28
        .size:           4
        .value_kind:     hidden_block_count_y
      - .offset:         32
        .size:           4
        .value_kind:     hidden_block_count_z
      - .offset:         36
        .size:           2
        .value_kind:     hidden_group_size_x
      - .offset:         38
        .size:           2
        .value_kind:     hidden_group_size_y
      - .offset:         40
        .size:           2
        .value_kind:     hidden_group_size_z
      - .offset:         42
        .size:           2
        .value_kind:     hidden_remainder_x
      - .offset:         44
        .size:           2
        .value_kind:     hidden_remainder_y
      - .offset:         46
        .size:           2
        .value_kind:     hidden_remainder_z
      - .offset:         64
        .size:           8
        .value_kind:     hidden_global_offset_x
      - .offset:         72
        .size:           8
        .value_kind:     hidden_global_offset_y
      - .offset:         80
        .size:           8
        .value_kind:     hidden_global_offset_z
      - .offset:         88
        .size:           2
        .value_kind:     hidden_grid_dims
    .group_segment_fixed_size: 0
    .kernarg_segment_align: 8
    .kernarg_segment_size: 280
    .language:       OpenCL C
    .language_version:
      - 2
      - 0
    .max_flat_workgroup_size: 1024
    .name:           _ZN4vllm17activation_kernelIN3c108BFloat16ETnPFT_RKS3_EXadL_ZNS_16gelu_fast_kernelIS2_EES3_S5_EEEEvPS3_PS4_i
    .private_segment_fixed_size: 0
    .sgpr_count:     28
    .sgpr_spill_count: 0
    .symbol:         _ZN4vllm17activation_kernelIN3c108BFloat16ETnPFT_RKS3_EXadL_ZNS_16gelu_fast_kernelIS2_EES3_S5_EEEEvPS3_PS4_i.kd
    .uniform_work_group_size: 1
    .uses_dynamic_stack: false
    .vgpr_count:     15
    .vgpr_spill_count: 0
    .wavefront_size: 64
  - .agpr_count:     0
    .args:
      - .actual_access:  write_only
        .address_space:  global
        .offset:         0
        .size:           8
        .value_kind:     global_buffer
      - .actual_access:  read_only
        .address_space:  global
        .offset:         8
        .size:           8
        .value_kind:     global_buffer
      - .offset:         16
        .size:           4
        .value_kind:     by_value
      - .offset:         24
        .size:           4
        .value_kind:     hidden_block_count_x
      - .offset:         28
        .size:           4
        .value_kind:     hidden_block_count_y
      - .offset:         32
        .size:           4
        .value_kind:     hidden_block_count_z
      - .offset:         36
        .size:           2
        .value_kind:     hidden_group_size_x
      - .offset:         38
        .size:           2
        .value_kind:     hidden_group_size_y
      - .offset:         40
        .size:           2
        .value_kind:     hidden_group_size_z
      - .offset:         42
        .size:           2
        .value_kind:     hidden_remainder_x
      - .offset:         44
        .size:           2
        .value_kind:     hidden_remainder_y
      - .offset:         46
        .size:           2
        .value_kind:     hidden_remainder_z
      - .offset:         64
        .size:           8
        .value_kind:     hidden_global_offset_x
      - .offset:         72
        .size:           8
        .value_kind:     hidden_global_offset_y
      - .offset:         80
        .size:           8
        .value_kind:     hidden_global_offset_z
      - .offset:         88
        .size:           2
        .value_kind:     hidden_grid_dims
    .group_segment_fixed_size: 0
    .kernarg_segment_align: 8
    .kernarg_segment_size: 280
    .language:       OpenCL C
    .language_version:
      - 2
      - 0
    .max_flat_workgroup_size: 1024
    .name:           _ZN4vllm17activation_kernelIfTnPFT_RKS1_EXadL_ZNS_17gelu_quick_kernelIfEES1_S3_EEEEvPS1_PS2_i
    .private_segment_fixed_size: 0
    .sgpr_count:     25
    .sgpr_spill_count: 0
    .symbol:         _ZN4vllm17activation_kernelIfTnPFT_RKS1_EXadL_ZNS_17gelu_quick_kernelIfEES1_S3_EEEEvPS1_PS2_i.kd
    .uniform_work_group_size: 1
    .uses_dynamic_stack: false
    .vgpr_count:     27
    .vgpr_spill_count: 0
    .wavefront_size: 64
  - .agpr_count:     0
    .args:
      - .actual_access:  write_only
        .address_space:  global
        .offset:         0
        .size:           8
        .value_kind:     global_buffer
      - .actual_access:  read_only
        .address_space:  global
        .offset:         8
        .size:           8
        .value_kind:     global_buffer
      - .offset:         16
        .size:           4
        .value_kind:     by_value
      - .offset:         24
        .size:           4
        .value_kind:     hidden_block_count_x
      - .offset:         28
        .size:           4
        .value_kind:     hidden_block_count_y
      - .offset:         32
        .size:           4
        .value_kind:     hidden_block_count_z
      - .offset:         36
        .size:           2
        .value_kind:     hidden_group_size_x
      - .offset:         38
        .size:           2
        .value_kind:     hidden_group_size_y
      - .offset:         40
        .size:           2
        .value_kind:     hidden_group_size_z
      - .offset:         42
        .size:           2
        .value_kind:     hidden_remainder_x
      - .offset:         44
        .size:           2
        .value_kind:     hidden_remainder_y
      - .offset:         46
        .size:           2
        .value_kind:     hidden_remainder_z
      - .offset:         64
        .size:           8
        .value_kind:     hidden_global_offset_x
      - .offset:         72
        .size:           8
        .value_kind:     hidden_global_offset_y
      - .offset:         80
        .size:           8
        .value_kind:     hidden_global_offset_z
      - .offset:         88
        .size:           2
        .value_kind:     hidden_grid_dims
    .group_segment_fixed_size: 0
    .kernarg_segment_align: 8
    .kernarg_segment_size: 280
    .language:       OpenCL C
    .language_version:
      - 2
      - 0
    .max_flat_workgroup_size: 1024
    .name:           _ZN4vllm17activation_kernelIN3c104HalfETnPFT_RKS3_EXadL_ZNS_17gelu_quick_kernelIS2_EES3_S5_EEEEvPS3_PS4_i
    .private_segment_fixed_size: 0
    .sgpr_count:     29
    .sgpr_spill_count: 0
    .symbol:         _ZN4vllm17activation_kernelIN3c104HalfETnPFT_RKS3_EXadL_ZNS_17gelu_quick_kernelIS2_EES3_S5_EEEEvPS3_PS4_i.kd
    .uniform_work_group_size: 1
    .uses_dynamic_stack: false
    .vgpr_count:     41
    .vgpr_spill_count: 0
    .wavefront_size: 64
  - .agpr_count:     0
    .args:
      - .actual_access:  write_only
        .address_space:  global
        .offset:         0
        .size:           8
        .value_kind:     global_buffer
      - .actual_access:  read_only
        .address_space:  global
        .offset:         8
        .size:           8
        .value_kind:     global_buffer
      - .offset:         16
        .size:           4
        .value_kind:     by_value
      - .offset:         24
        .size:           4
        .value_kind:     hidden_block_count_x
      - .offset:         28
        .size:           4
        .value_kind:     hidden_block_count_y
      - .offset:         32
        .size:           4
        .value_kind:     hidden_block_count_z
      - .offset:         36
        .size:           2
        .value_kind:     hidden_group_size_x
      - .offset:         38
        .size:           2
        .value_kind:     hidden_group_size_y
      - .offset:         40
        .size:           2
        .value_kind:     hidden_group_size_z
      - .offset:         42
        .size:           2
        .value_kind:     hidden_remainder_x
      - .offset:         44
        .size:           2
        .value_kind:     hidden_remainder_y
      - .offset:         46
        .size:           2
        .value_kind:     hidden_remainder_z
      - .offset:         64
        .size:           8
        .value_kind:     hidden_global_offset_x
      - .offset:         72
        .size:           8
        .value_kind:     hidden_global_offset_y
      - .offset:         80
        .size:           8
        .value_kind:     hidden_global_offset_z
      - .offset:         88
        .size:           2
        .value_kind:     hidden_grid_dims
    .group_segment_fixed_size: 0
    .kernarg_segment_align: 8
    .kernarg_segment_size: 280
    .language:       OpenCL C
    .language_version:
      - 2
      - 0
    .max_flat_workgroup_size: 1024
    .name:           _ZN4vllm17activation_kernelIN3c108BFloat16ETnPFT_RKS3_EXadL_ZNS_17gelu_quick_kernelIS2_EES3_S5_EEEEvPS3_PS4_i
    .private_segment_fixed_size: 0
    .sgpr_count:     31
    .sgpr_spill_count: 0
    .symbol:         _ZN4vllm17activation_kernelIN3c108BFloat16ETnPFT_RKS3_EXadL_ZNS_17gelu_quick_kernelIS2_EES3_S5_EEEEvPS3_PS4_i.kd
    .uniform_work_group_size: 1
    .uses_dynamic_stack: false
    .vgpr_count:     42
    .vgpr_spill_count: 0
    .wavefront_size: 64
amdhsa.target:   amdgcn-amd-amdhsa--gfx950
amdhsa.version:
  - 1
  - 2
...

	.end_amdgpu_metadata
